;; amdgpu-corpus repo=ROCm/rocFFT kind=compiled arch=gfx950 opt=O3
	.text
	.amdgcn_target "amdgcn-amd-amdhsa--gfx950"
	.amdhsa_code_object_version 6
	.protected	bluestein_single_fwd_len594_dim1_dp_op_CI_CI ; -- Begin function bluestein_single_fwd_len594_dim1_dp_op_CI_CI
	.globl	bluestein_single_fwd_len594_dim1_dp_op_CI_CI
	.p2align	8
	.type	bluestein_single_fwd_len594_dim1_dp_op_CI_CI,@function
bluestein_single_fwd_len594_dim1_dp_op_CI_CI: ; @bluestein_single_fwd_len594_dim1_dp_op_CI_CI
; %bb.0:
	s_load_dwordx4 s[8:11], s[0:1], 0x28
	v_mul_u32_u24_e32 v1, 0x296, v0
	v_mov_b32_e32 v115, 0
	v_add_u32_sdwa v116, s2, v1 dst_sel:DWORD dst_unused:UNUSED_PAD src0_sel:DWORD src1_sel:WORD_1
	v_mov_b32_e32 v117, v115
	s_waitcnt lgkmcnt(0)
	v_cmp_gt_u64_e32 vcc, s[8:9], v[116:117]
	s_and_saveexec_b64 s[2:3], vcc
	s_cbranch_execz .LBB0_15
; %bb.1:
	s_load_dwordx2 s[8:9], s[0:1], 0x0
	s_load_dwordx2 s[12:13], s[0:1], 0x38
	s_movk_i32 s2, 0x63
	v_mul_lo_u16_sdwa v1, v1, s2 dst_sel:DWORD dst_unused:UNUSED_PAD src0_sel:WORD_1 src1_sel:DWORD
	v_sub_u16_e32 v114, v0, v1
	v_cmp_gt_u16_e64 s[2:3], 54, v114
	v_lshlrev_b32_e32 v112, 4, v114
	s_and_saveexec_b64 s[14:15], s[2:3]
	s_cbranch_execz .LBB0_3
; %bb.2:
	s_load_dwordx2 s[4:5], s[0:1], 0x18
	v_mov_b32_e32 v0, s10
	v_mov_b32_e32 v1, s11
	;; [unrolled: 1-line block ×4, first 2 shown]
	s_waitcnt lgkmcnt(0)
	s_load_dwordx4 s[4:7], s[4:5], 0x0
	v_lshl_add_u64 v[80:81], s[8:9], 0, v[112:113]
	s_waitcnt lgkmcnt(0)
	v_mad_u64_u32 v[2:3], s[10:11], s6, v116, 0
	v_mad_u64_u32 v[4:5], s[10:11], s4, v114, 0
	v_mov_b32_e32 v6, v3
	v_mov_b32_e32 v8, v5
	v_mad_u64_u32 v[6:7], s[6:7], s7, v116, v[6:7]
	v_mov_b32_e32 v3, v6
	v_mad_u64_u32 v[6:7], s[6:7], s5, v114, v[8:9]
	v_mov_b32_e32 v5, v6
	v_lshl_add_u64 v[0:1], v[2:3], 4, v[0:1]
	v_lshl_add_u64 v[4:5], v[4:5], 4, v[0:1]
	v_mad_u64_u32 v[20:21], s[6:7], s4, v84, v[4:5]
	s_mulk_i32 s5, 0x360
	v_add_u32_e32 v21, s5, v21
	v_mad_u64_u32 v[22:23], s[6:7], s4, v84, v[20:21]
	v_add_u32_e32 v23, s5, v23
	v_mad_u64_u32 v[40:41], s[6:7], s4, v84, v[22:23]
	global_load_dwordx4 v[0:3], v[4:5], off
	v_add_u32_e32 v41, s5, v41
	global_load_dwordx4 v[4:7], v112, s[8:9]
	global_load_dwordx4 v[8:11], v112, s[8:9] offset:864
	v_mad_u64_u32 v[60:61], s[6:7], s4, v84, v[40:41]
	global_load_dwordx4 v[16:19], v[20:21], off
	global_load_dwordx4 v[12:15], v[22:23], off
	v_add_u32_e32 v61, s5, v61
	s_movk_i32 s6, 0x1000
	global_load_dwordx4 v[20:23], v112, s[8:9] offset:1728
	global_load_dwordx4 v[24:27], v112, s[8:9] offset:2592
	v_add_co_u32_e32 v62, vcc, s6, v80
	v_mad_u64_u32 v[64:65], s[6:7], s4, v84, v[60:61]
	global_load_dwordx4 v[28:31], v112, s[8:9] offset:3456
	global_load_dwordx4 v[36:39], v[40:41], off
	global_load_dwordx4 v[32:35], v[60:61], off
	v_addc_co_u32_e32 v63, vcc, 0, v81, vcc
	v_add_u32_e32 v65, s5, v65
	global_load_dwordx4 v[40:43], v[62:63], off offset:224
	global_load_dwordx4 v[44:47], v[62:63], off offset:1088
	;; [unrolled: 1-line block ×5, first 2 shown]
	v_mad_u64_u32 v[68:69], s[6:7], s4, v84, v[64:65]
	global_load_dwordx4 v[60:63], v[64:65], off
	v_add_u32_e32 v69, s5, v69
	global_load_dwordx4 v[64:67], v[68:69], off
	v_mad_u64_u32 v[72:73], s[6:7], s4, v84, v[68:69]
	v_add_u32_e32 v73, s5, v73
	global_load_dwordx4 v[68:71], v[72:73], off
	v_mad_u64_u32 v[76:77], s[6:7], s4, v84, v[72:73]
	;; [unrolled: 3-line block ×3, first 2 shown]
	s_movk_i32 s10, 0x2000
	v_add_u32_e32 v83, s5, v83
	global_load_dwordx4 v[76:79], v[82:83], off
	v_add_co_u32_e32 v90, vcc, s10, v80
	v_mad_u64_u32 v[88:89], s[6:7], s4, v84, v[82:83]
	s_nop 0
	v_addc_co_u32_e32 v91, vcc, 0, v81, vcc
	v_add_u32_e32 v89, s5, v89
	global_load_dwordx4 v[80:83], v[90:91], off offset:448
	global_load_dwordx4 v[84:87], v[88:89], off
	s_waitcnt vmcnt(20)
	v_mul_f64 v[88:89], v[2:3], v[6:7]
	v_mul_f64 v[6:7], v[0:1], v[6:7]
	v_fmac_f64_e32 v[88:89], v[0:1], v[4:5]
	v_fma_f64 v[90:91], v[2:3], v[4:5], -v[6:7]
	s_waitcnt vmcnt(18)
	v_mul_f64 v[0:1], v[18:19], v[10:11]
	v_mul_f64 v[2:3], v[16:17], v[10:11]
	v_fmac_f64_e32 v[0:1], v[16:17], v[8:9]
	v_fma_f64 v[2:3], v[18:19], v[8:9], -v[2:3]
	s_waitcnt vmcnt(16)
	v_mul_f64 v[4:5], v[14:15], v[22:23]
	v_mul_f64 v[6:7], v[12:13], v[22:23]
	ds_write_b128 v112, v[0:3] offset:864
	s_waitcnt vmcnt(13)
	v_mul_f64 v[0:1], v[38:39], v[26:27]
	v_mul_f64 v[2:3], v[36:37], v[26:27]
	v_fmac_f64_e32 v[4:5], v[12:13], v[20:21]
	v_fma_f64 v[6:7], v[14:15], v[20:21], -v[6:7]
	v_fmac_f64_e32 v[0:1], v[36:37], v[24:25]
	v_fma_f64 v[2:3], v[38:39], v[24:25], -v[2:3]
	s_waitcnt vmcnt(12)
	v_mul_f64 v[10:11], v[32:33], v[30:31]
	v_mul_f64 v[8:9], v[34:35], v[30:31]
	ds_write_b128 v112, v[88:91]
	v_fma_f64 v[10:11], v[34:35], v[28:29], -v[10:11]
	v_fmac_f64_e32 v[8:9], v[32:33], v[28:29]
	ds_write_b128 v112, v[4:7] offset:1728
	ds_write_b128 v112, v[0:3] offset:2592
	;; [unrolled: 1-line block ×3, first 2 shown]
	s_waitcnt vmcnt(6)
	v_mul_f64 v[0:1], v[62:63], v[42:43]
	v_mul_f64 v[2:3], v[60:61], v[42:43]
	v_fmac_f64_e32 v[0:1], v[60:61], v[40:41]
	v_fma_f64 v[2:3], v[62:63], v[40:41], -v[2:3]
	ds_write_b128 v112, v[0:3] offset:4320
	s_waitcnt vmcnt(5)
	v_mul_f64 v[0:1], v[66:67], v[46:47]
	v_mul_f64 v[2:3], v[64:65], v[46:47]
	v_fmac_f64_e32 v[0:1], v[64:65], v[44:45]
	v_fma_f64 v[2:3], v[66:67], v[44:45], -v[2:3]
	ds_write_b128 v112, v[0:3] offset:5184
	;; [unrolled: 6-line block ×6, first 2 shown]
.LBB0_3:
	s_or_b64 exec, exec, s[14:15]
	s_load_dwordx2 s[4:5], s[0:1], 0x20
	s_load_dwordx2 s[10:11], s[0:1], 0x8
	s_waitcnt lgkmcnt(0)
	s_barrier
	s_waitcnt lgkmcnt(0)
                                        ; implicit-def: $vgpr20_vgpr21
                                        ; implicit-def: $vgpr24_vgpr25
                                        ; implicit-def: $vgpr28_vgpr29
                                        ; implicit-def: $vgpr32_vgpr33
                                        ; implicit-def: $vgpr36_vgpr37
                                        ; implicit-def: $vgpr40_vgpr41
                                        ; implicit-def: $vgpr44_vgpr45
                                        ; implicit-def: $vgpr48_vgpr49
                                        ; implicit-def: $vgpr52_vgpr53
                                        ; implicit-def: $vgpr56_vgpr57
                                        ; implicit-def: $vgpr60_vgpr61
	s_and_saveexec_b64 s[0:1], s[2:3]
	s_cbranch_execz .LBB0_5
; %bb.4:
	ds_read_b128 v[20:23], v112
	ds_read_b128 v[24:27], v112 offset:864
	ds_read_b128 v[28:31], v112 offset:1728
	;; [unrolled: 1-line block ×10, first 2 shown]
.LBB0_5:
	s_or_b64 exec, exec, s[0:1]
	s_mov_b32 s18, 0xf8bb580b
	s_waitcnt lgkmcnt(0)
	v_add_f64 v[16:17], v[26:27], -v[62:63]
	s_mov_b32 s0, 0x8764f0ba
	s_mov_b32 s19, 0xbfe14ced
	v_add_f64 v[76:77], v[24:25], v[60:61]
	s_mov_b32 s1, 0x3feaeb8c
	v_mul_f64 v[64:65], v[16:17], s[18:19]
	s_mov_b32 s6, 0xd9c712b6
	s_mov_b32 s17, 0xbfed1bb4
	;; [unrolled: 1-line block ×3, first 2 shown]
	v_add_f64 v[18:19], v[30:31], -v[58:59]
	v_fma_f64 v[0:1], s[0:1], v[76:77], v[64:65]
	s_mov_b32 s7, 0x3fda9628
	v_add_f64 v[86:87], v[28:29], v[56:57]
	v_mul_f64 v[66:67], v[18:19], s[16:17]
	v_add_f64 v[174:175], v[24:25], -v[60:61]
	v_add_f64 v[0:1], v[20:21], v[0:1]
	v_fma_f64 v[2:3], s[6:7], v[86:87], v[66:67]
	v_add_f64 v[94:95], v[26:27], v[62:63]
	v_mul_f64 v[68:69], v[174:175], s[18:19]
	v_add_f64 v[176:177], v[28:29], -v[56:57]
	s_mov_b32 s22, 0x43842ef
	v_add_f64 v[0:1], v[2:3], v[0:1]
	v_fma_f64 v[2:3], v[94:95], s[0:1], -v[68:69]
	v_add_f64 v[92:93], v[30:31], v[58:59]
	v_mul_f64 v[70:71], v[176:177], s[16:17]
	s_mov_b32 s14, 0x640f44db
	s_mov_b32 s23, 0xbfefac9e
	v_add_f64 v[180:181], v[34:35], -v[54:55]
	v_add_f64 v[2:3], v[22:23], v[2:3]
	v_fma_f64 v[4:5], v[92:93], s[6:7], -v[70:71]
	s_mov_b32 s15, 0xbfc2375f
	v_add_f64 v[110:111], v[32:33], v[52:53]
	v_mul_f64 v[72:73], v[180:181], s[22:23]
	v_add_f64 v[184:185], v[32:33], -v[52:53]
	s_mov_b32 s26, 0xbb3a28a1
	v_add_f64 v[2:3], v[4:5], v[2:3]
	v_fma_f64 v[4:5], s[14:15], v[110:111], v[72:73]
	v_add_f64 v[118:119], v[34:35], v[54:55]
	v_mul_f64 v[74:75], v[184:185], s[22:23]
	s_mov_b32 s20, 0x7f775887
	s_mov_b32 s27, 0xbfe82f19
	v_add_f64 v[186:187], v[38:39], -v[50:51]
	v_add_f64 v[0:1], v[4:5], v[0:1]
	v_fma_f64 v[4:5], v[118:119], s[14:15], -v[74:75]
	s_mov_b32 s21, 0xbfe4f49e
	v_add_f64 v[122:123], v[36:37], v[48:49]
	v_mul_f64 v[78:79], v[186:187], s[26:27]
	v_add_f64 v[188:189], v[36:37], -v[48:49]
	s_mov_b32 s28, 0xfd768dbf
	v_add_f64 v[2:3], v[4:5], v[2:3]
	v_fma_f64 v[4:5], s[20:21], v[122:123], v[78:79]
	v_add_f64 v[124:125], v[38:39], v[50:51]
	v_mul_f64 v[80:81], v[188:189], s[26:27]
	s_mov_b32 s24, 0x9bcd5057
	s_mov_b32 s29, 0xbfd207e7
	v_add_f64 v[190:191], v[42:43], -v[46:47]
	v_add_f64 v[0:1], v[4:5], v[0:1]
	v_fma_f64 v[4:5], v[124:125], s[20:21], -v[80:81]
	s_mov_b32 s25, 0xbfeeb42a
	v_add_f64 v[128:129], v[40:41], v[44:45]
	v_mul_f64 v[82:83], v[190:191], s[28:29]
	v_add_f64 v[192:193], v[40:41], -v[44:45]
	v_add_f64 v[2:3], v[4:5], v[2:3]
	v_fma_f64 v[4:5], s[24:25], v[128:129], v[82:83]
	v_add_f64 v[132:133], v[42:43], v[46:47]
	v_mul_f64 v[84:85], v[192:193], s[28:29]
	v_add_f64 v[0:1], v[4:5], v[0:1]
	v_fma_f64 v[4:5], v[132:133], s[24:25], -v[84:85]
	v_mul_f64 v[88:89], v[16:17], s[16:17]
	v_add_f64 v[2:3], v[4:5], v[2:3]
	v_fma_f64 v[4:5], s[6:7], v[76:77], v[88:89]
	v_mul_f64 v[90:91], v[18:19], s[26:27]
	v_add_f64 v[4:5], v[20:21], v[4:5]
	v_fma_f64 v[6:7], s[20:21], v[86:87], v[90:91]
	v_mul_f64 v[98:99], v[174:175], s[16:17]
	v_add_f64 v[4:5], v[6:7], v[4:5]
	v_fma_f64 v[6:7], v[94:95], s[6:7], -v[98:99]
	v_mul_f64 v[100:101], v[176:177], s[26:27]
	s_mov_b32 s31, 0x3fd207e7
	s_mov_b32 s30, s28
	v_add_f64 v[6:7], v[22:23], v[6:7]
	v_fma_f64 v[8:9], v[92:93], s[20:21], -v[100:101]
	v_mul_f64 v[96:97], v[180:181], s[30:31]
	v_add_f64 v[6:7], v[8:9], v[6:7]
	v_fma_f64 v[8:9], s[24:25], v[110:111], v[96:97]
	v_mul_f64 v[104:105], v[184:185], s[30:31]
	s_mov_b32 s35, 0x3fefac9e
	s_mov_b32 s34, s22
	v_add_f64 v[4:5], v[8:9], v[4:5]
	v_fma_f64 v[8:9], v[118:119], s[24:25], -v[104:105]
	v_mul_f64 v[102:103], v[186:187], s[34:35]
	v_add_f64 v[6:7], v[8:9], v[6:7]
	v_fma_f64 v[8:9], s[14:15], v[122:123], v[102:103]
	;; [unrolled: 8-line block ×3, first 2 shown]
	v_mul_f64 v[120:121], v[192:193], s[36:37]
	v_add_f64 v[4:5], v[8:9], v[4:5]
	v_fma_f64 v[8:9], v[132:133], s[0:1], -v[120:121]
	v_mul_f64 v[126:127], v[16:17], s[22:23]
	v_add_f64 v[6:7], v[8:9], v[6:7]
	v_fma_f64 v[8:9], s[14:15], v[76:77], v[126:127]
	v_mul_f64 v[130:131], v[18:19], s[30:31]
	v_add_f64 v[8:9], v[20:21], v[8:9]
	v_fma_f64 v[10:11], s[24:25], v[86:87], v[130:131]
	v_mul_f64 v[136:137], v[174:175], s[22:23]
	v_add_f64 v[8:9], v[10:11], v[8:9]
	v_fma_f64 v[10:11], v[94:95], s[14:15], -v[136:137]
	v_mul_f64 v[138:139], v[176:177], s[30:31]
	s_mov_b32 s17, 0x3fed1bb4
	v_add_f64 v[10:11], v[22:23], v[10:11]
	v_fma_f64 v[12:13], v[92:93], s[24:25], -v[138:139]
	v_mul_f64 v[134:135], v[180:181], s[16:17]
	v_add_f64 v[10:11], v[12:13], v[10:11]
	v_fma_f64 v[12:13], s[6:7], v[110:111], v[134:135]
	v_mul_f64 v[144:145], v[184:185], s[16:17]
	v_add_f64 v[8:9], v[12:13], v[8:9]
	v_fma_f64 v[12:13], v[118:119], s[6:7], -v[144:145]
	v_mul_f64 v[140:141], v[186:187], s[18:19]
	v_add_f64 v[10:11], v[12:13], v[10:11]
	v_fma_f64 v[12:13], s[0:1], v[122:123], v[140:141]
	v_mul_f64 v[146:147], v[188:189], s[18:19]
	;; [unrolled: 6-line block ×4, first 2 shown]
	v_add_f64 v[12:13], v[20:21], v[12:13]
	v_fma_f64 v[14:15], s[14:15], v[86:87], v[152:153]
	v_mul_f64 v[156:157], v[174:175], s[26:27]
	v_add_f64 v[12:13], v[14:15], v[12:13]
	v_fma_f64 v[14:15], v[94:95], s[20:21], -v[156:157]
	v_mul_f64 v[160:161], v[176:177], s[34:35]
	v_add_f64 v[14:15], v[22:23], v[14:15]
	v_fma_f64 v[154:155], v[92:93], s[14:15], -v[160:161]
	v_add_f64 v[14:15], v[154:155], v[14:15]
	v_mul_f64 v[154:155], v[180:181], s[18:19]
	v_fma_f64 v[158:159], s[0:1], v[110:111], v[154:155]
	v_mul_f64 v[164:165], v[184:185], s[18:19]
	v_add_f64 v[12:13], v[158:159], v[12:13]
	v_fma_f64 v[158:159], v[118:119], s[0:1], -v[164:165]
	v_add_f64 v[14:15], v[158:159], v[14:15]
	v_mul_f64 v[158:159], v[186:187], s[28:29]
	v_fma_f64 v[162:163], s[24:25], v[122:123], v[158:159]
	;; [unrolled: 6-line block ×3, first 2 shown]
	v_add_f64 v[12:13], v[168:169], v[12:13]
	v_mul_f64 v[168:169], v[192:193], s[16:17]
	v_fma_f64 v[170:171], v[132:133], s[6:7], -v[168:169]
	v_add_f64 v[14:15], v[170:171], v[14:15]
	v_mul_f64 v[170:171], v[16:17], s[28:29]
	v_fma_f64 v[16:17], s[24:25], v[76:77], v[170:171]
	v_mul_f64 v[172:173], v[18:19], s[36:37]
	v_add_f64 v[16:17], v[20:21], v[16:17]
	v_fma_f64 v[18:19], s[0:1], v[86:87], v[172:173]
	v_mul_f64 v[178:179], v[174:175], s[28:29]
	v_add_f64 v[16:17], v[18:19], v[16:17]
	v_fma_f64 v[18:19], v[94:95], s[24:25], -v[178:179]
	v_mul_f64 v[182:183], v[176:177], s[36:37]
	v_add_f64 v[18:19], v[22:23], v[18:19]
	v_fma_f64 v[174:175], v[92:93], s[0:1], -v[182:183]
	v_add_f64 v[18:19], v[174:175], v[18:19]
	v_mul_f64 v[174:175], v[180:181], s[26:27]
	v_fma_f64 v[176:177], s[20:21], v[110:111], v[174:175]
	v_mul_f64 v[184:185], v[184:185], s[26:27]
	v_add_f64 v[16:17], v[176:177], v[16:17]
	v_fma_f64 v[176:177], v[118:119], s[20:21], -v[184:185]
	v_add_f64 v[18:19], v[176:177], v[18:19]
	v_mul_f64 v[176:177], v[186:187], s[16:17]
	v_fma_f64 v[180:181], s[6:7], v[122:123], v[176:177]
	v_mul_f64 v[186:187], v[188:189], s[16:17]
	v_add_f64 v[16:17], v[180:181], v[16:17]
	v_fma_f64 v[180:181], v[124:125], s[6:7], -v[186:187]
	v_add_f64 v[18:19], v[180:181], v[18:19]
	v_mul_f64 v[180:181], v[190:191], s[22:23]
	v_mul_f64 v[188:189], v[192:193], s[22:23]
	v_fma_f64 v[190:191], s[14:15], v[128:129], v[180:181]
	v_add_f64 v[16:17], v[190:191], v[16:17]
	v_fma_f64 v[190:191], v[132:133], s[14:15], -v[188:189]
	v_add_f64 v[18:19], v[190:191], v[18:19]
	v_mul_lo_u16_e32 v117, 11, v114
	s_barrier
	s_and_saveexec_b64 s[16:17], s[2:3]
	s_cbranch_execz .LBB0_7
; %bb.6:
	v_mul_f64 v[192:193], v[94:95], s[0:1]
	v_mul_f64 v[196:197], v[94:95], s[6:7]
	;; [unrolled: 1-line block ×10, first 2 shown]
	v_add_f64 v[94:95], v[178:179], v[94:95]
	v_mul_f64 v[224:225], v[118:119], s[14:15]
	v_mul_f64 v[228:229], v[118:119], s[24:25]
	;; [unrolled: 1-line block ×6, first 2 shown]
	v_add_f64 v[92:93], v[182:183], v[92:93]
	v_add_f64 v[94:95], v[22:23], v[94:95]
	v_mul_f64 v[190:191], v[76:77], s[0:1]
	v_mul_f64 v[194:195], v[76:77], s[6:7]
	;; [unrolled: 1-line block ×5, first 2 shown]
	v_add_f64 v[188:189], v[188:189], v[248:249]
	v_mul_f64 v[248:249], v[124:125], s[6:7]
	v_add_f64 v[118:119], v[184:185], v[118:119]
	v_add_f64 v[92:93], v[92:93], v[94:95]
	v_mul_f64 v[206:207], v[86:87], s[6:7]
	v_mul_f64 v[210:211], v[86:87], s[20:21]
	;; [unrolled: 1-line block ×5, first 2 shown]
	v_add_f64 v[186:187], v[186:187], v[248:249]
	v_add_f64 v[92:93], v[118:119], v[92:93]
	v_add_f64 v[76:77], v[76:77], -v[170:171]
	v_mul_f64 v[222:223], v[110:111], s[14:15]
	v_mul_f64 v[226:227], v[110:111], s[24:25]
	;; [unrolled: 1-line block ×5, first 2 shown]
	v_add_f64 v[92:93], v[186:187], v[92:93]
	v_mul_f64 v[94:95], v[128:129], s[14:15]
	v_add_f64 v[86:87], v[86:87], -v[172:173]
	v_add_f64 v[76:77], v[20:21], v[76:77]
	v_mul_f64 v[238:239], v[122:123], s[20:21]
	v_mul_f64 v[240:241], v[124:125], s[20:21]
	;; [unrolled: 1-line block ×9, first 2 shown]
	v_add_f64 v[180:181], v[94:95], -v[180:181]
	v_add_f64 v[94:95], v[188:189], v[92:93]
	v_add_f64 v[92:93], v[110:111], -v[174:175]
	v_add_f64 v[76:77], v[86:87], v[76:77]
	;; [unrolled: 2-line block ×3, first 2 shown]
	v_add_f64 v[86:87], v[166:167], v[124:125]
	v_add_f64 v[124:125], v[156:157], v[204:205]
	;; [unrolled: 1-line block ×7, first 2 shown]
	v_mul_f64 v[178:179], v[132:133], s[24:25]
	v_mul_f64 v[118:119], v[132:133], s[0:1]
	;; [unrolled: 1-line block ×4, first 2 shown]
	v_add_f64 v[110:111], v[110:111], v[122:123]
	v_mul_f64 v[182:183], v[128:129], s[24:25]
	v_mul_f64 v[250:251], v[128:129], s[0:1]
	;; [unrolled: 1-line block ×4, first 2 shown]
	v_add_f64 v[92:93], v[180:181], v[76:77]
	v_add_f64 v[76:77], v[168:169], v[132:133]
	;; [unrolled: 1-line block ×4, first 2 shown]
	v_add_f64 v[76:77], v[128:129], -v[162:163]
	v_add_f64 v[128:129], v[202:203], -v[150:151]
	v_add_f64 v[122:123], v[218:219], -v[152:153]
	v_add_f64 v[128:129], v[20:21], v[128:129]
	v_add_f64 v[110:111], v[234:235], -v[154:155]
	v_add_f64 v[122:123], v[122:123], v[128:129]
	v_add_f64 v[132:133], v[136:137], v[200:201]
	v_add_f64 v[86:87], v[184:185], -v[158:159]
	v_add_f64 v[110:111], v[110:111], v[122:123]
	v_add_f64 v[128:129], v[138:139], v[216:217]
	;; [unrolled: 1-line block ×3, first 2 shown]
	v_add_f64 v[126:127], v[198:199], -v[126:127]
	v_add_f64 v[98:99], v[98:99], v[196:197]
	v_add_f64 v[88:89], v[194:195], -v[88:89]
	v_add_f64 v[68:69], v[68:69], v[192:193]
	;; [unrolled: 2-line block ×3, first 2 shown]
	v_add_f64 v[110:111], v[144:145], v[232:233]
	v_add_f64 v[128:129], v[128:129], v[132:133]
	v_add_f64 v[126:127], v[20:21], v[126:127]
	v_add_f64 v[98:99], v[22:23], v[98:99]
	v_add_f64 v[88:89], v[20:21], v[88:89]
	v_add_f64 v[68:69], v[22:23], v[68:69]
	v_add_f64 v[64:65], v[20:21], v[64:65]
	v_add_f64 v[22:23], v[22:23], v[26:27]
	v_add_f64 v[20:21], v[20:21], v[24:25]
	v_add_f64 v[122:123], v[76:77], v[86:87]
	v_add_f64 v[86:87], v[146:147], v[248:249]
	v_add_f64 v[110:111], v[110:111], v[128:129]
	v_add_f64 v[130:131], v[214:215], -v[130:131]
	v_add_f64 v[22:23], v[22:23], v[30:31]
	v_add_f64 v[20:21], v[20:21], v[28:29]
	v_add_f64 v[76:77], v[148:149], v[176:177]
	v_add_f64 v[86:87], v[86:87], v[110:111]
	v_add_f64 v[110:111], v[230:231], -v[134:135]
	v_add_f64 v[126:127], v[130:131], v[126:127]
	v_add_f64 v[22:23], v[22:23], v[34:35]
	v_add_f64 v[20:21], v[20:21], v[32:33]
	v_add_f64 v[128:129], v[76:77], v[86:87]
	;; [unrolled: 5-line block ×4, first 2 shown]
	v_add_f64 v[20:21], v[20:21], v[40:41]
	v_add_f64 v[126:127], v[76:77], v[86:87]
	;; [unrolled: 1-line block ×4, first 2 shown]
	v_add_f64 v[90:91], v[210:211], -v[90:91]
	v_add_f64 v[22:23], v[22:23], v[46:47]
	v_add_f64 v[20:21], v[20:21], v[44:45]
	;; [unrolled: 1-line block ×4, first 2 shown]
	v_add_f64 v[96:97], v[226:227], -v[96:97]
	v_add_f64 v[88:89], v[90:91], v[88:89]
	v_add_f64 v[70:71], v[70:71], v[208:209]
	v_add_f64 v[66:67], v[206:207], -v[66:67]
	v_add_f64 v[22:23], v[22:23], v[50:51]
	v_add_f64 v[20:21], v[20:21], v[48:49]
	v_add_f64 v[98:99], v[76:77], v[86:87]
	v_add_f64 v[86:87], v[242:243], -v[102:103]
	v_add_f64 v[88:89], v[96:97], v[88:89]
	;; [unrolled: 4-line block ×5, first 2 shown]
	v_add_f64 v[22:23], v[22:23], v[58:59]
	v_add_f64 v[20:21], v[20:21], v[56:57]
	;; [unrolled: 1-line block ×5, first 2 shown]
	v_add_f64 v[70:71], v[182:183], -v[82:83]
	v_add_f64 v[64:65], v[74:75], v[64:65]
	v_add_f64 v[22:23], v[22:23], v[62:63]
	;; [unrolled: 1-line block ×3, first 2 shown]
	v_lshlrev_b32_e32 v24, 4, v117
	v_add_f64 v[68:69], v[76:77], v[68:69]
	v_add_f64 v[66:67], v[70:71], v[64:65]
	ds_write_b128 v24, v[20:23]
	ds_write_b128 v24, v[66:69] offset:16
	ds_write_b128 v24, v[96:99] offset:32
	;; [unrolled: 1-line block ×10, first 2 shown]
.LBB0_7:
	s_or_b64 exec, exec, s[16:17]
	s_mov_b64 s[0:1], 0x63
	v_lshl_add_u64 v[64:65], v[114:115], 0, s[0:1]
	s_movk_i32 s0, 0x75
	v_mul_lo_u16_sdwa v20, v114, s0 dst_sel:DWORD dst_unused:UNUSED_PAD src0_sel:BYTE_0 src1_sel:DWORD
	v_sub_u16_sdwa v21, v114, v20 dst_sel:DWORD dst_unused:UNUSED_PAD src0_sel:DWORD src1_sel:BYTE_1
	v_lshrrev_b16_e32 v21, 1, v21
	v_and_b32_e32 v21, 0x7f, v21
	v_add_u16_sdwa v20, v21, v20 dst_sel:DWORD dst_unused:UNUSED_PAD src0_sel:DWORD src1_sel:BYTE_1
	v_lshrrev_b16_e32 v60, 3, v20
	v_mul_lo_u16_e32 v20, 11, v60
	v_sub_u16_e32 v20, v114, v20
	v_and_b32_e32 v61, 0xff, v20
	v_lshlrev_b32_e32 v28, 5, v61
	s_load_dwordx4 s[4:7], s[4:5], 0x0
	s_waitcnt lgkmcnt(0)
	s_barrier
	global_load_dwordx4 v[20:23], v28, s[10:11] offset:16
	global_load_dwordx4 v[24:27], v28, s[10:11]
	v_mul_lo_u16_sdwa v28, v64, s0 dst_sel:DWORD dst_unused:UNUSED_PAD src0_sel:BYTE_0 src1_sel:DWORD
	v_sub_u16_sdwa v29, v64, v28 dst_sel:DWORD dst_unused:UNUSED_PAD src0_sel:DWORD src1_sel:BYTE_1
	v_lshrrev_b16_e32 v29, 1, v29
	v_and_b32_e32 v29, 0x7f, v29
	v_add_u16_sdwa v28, v29, v28 dst_sel:DWORD dst_unused:UNUSED_PAD src0_sel:DWORD src1_sel:BYTE_1
	v_lshrrev_b16_e32 v62, 3, v28
	v_mul_lo_u16_e32 v28, 11, v62
	v_sub_u16_e32 v28, v64, v28
	v_and_b32_e32 v65, 0xff, v28
	v_lshlrev_b32_e32 v36, 5, v65
	global_load_dwordx4 v[32:35], v36, s[10:11]
	global_load_dwordx4 v[28:31], v36, s[10:11] offset:16
	v_mov_b32_e32 v36, 4
	v_lshlrev_b32_sdwa v115, v36, v114 dst_sel:DWORD dst_unused:UNUSED_PAD src0_sel:DWORD src1_sel:WORD_0
	ds_read_b128 v[36:39], v115
	ds_read_b128 v[40:43], v115 offset:1584
	ds_read_b128 v[44:47], v115 offset:3168
	;; [unrolled: 1-line block ×5, first 2 shown]
	v_mul_u32_u24_e32 v60, 33, v60
	v_mul_u32_u24_e32 v76, 33, v62
	v_add_lshl_u32 v158, v60, v61, 4
	s_mov_b32 s0, 0xe8584caa
	s_mov_b32 s1, 0x3febb67a
	;; [unrolled: 1-line block ×4, first 2 shown]
	s_movk_i32 s16, 0xf9
	s_waitcnt lgkmcnt(0)
	s_barrier
	v_add_lshl_u32 v159, v76, v65, 4
	s_waitcnt vmcnt(3)
	v_mul_f64 v[66:67], v[54:55], v[22:23]
	s_waitcnt vmcnt(2)
	v_mul_f64 v[60:61], v[46:47], v[26:27]
	v_mul_f64 v[62:63], v[44:45], v[26:27]
	;; [unrolled: 1-line block ×3, first 2 shown]
	v_fma_f64 v[44:45], v[44:45], v[24:25], -v[60:61]
	v_fmac_f64_e32 v[62:63], v[46:47], v[24:25]
	v_fma_f64 v[46:47], v[52:53], v[20:21], -v[66:67]
	v_fmac_f64_e32 v[68:69], v[54:55], v[20:21]
	v_add_f64 v[70:71], v[44:45], -v[46:47]
	s_waitcnt vmcnt(1)
	v_mul_f64 v[52:53], v[50:51], v[34:35]
	s_waitcnt vmcnt(0)
	v_mul_f64 v[60:61], v[58:59], v[30:31]
	v_mul_f64 v[66:67], v[56:57], v[30:31]
	;; [unrolled: 1-line block ×3, first 2 shown]
	v_fma_f64 v[48:49], v[48:49], v[32:33], -v[52:53]
	v_fma_f64 v[52:53], v[56:57], v[28:29], -v[60:61]
	v_fmac_f64_e32 v[66:67], v[58:59], v[28:29]
	v_add_f64 v[56:57], v[44:45], v[46:47]
	v_add_f64 v[58:59], v[62:63], -v[68:69]
	v_add_f64 v[60:61], v[38:39], v[62:63]
	v_add_f64 v[62:63], v[62:63], v[68:69]
	v_fmac_f64_e32 v[54:55], v[50:51], v[32:33]
	v_add_f64 v[50:51], v[36:37], v[44:45]
	v_fmac_f64_e32 v[36:37], -0.5, v[56:57]
	v_fmac_f64_e32 v[38:39], -0.5, v[62:63]
	v_add_f64 v[44:45], v[50:51], v[46:47]
	v_add_f64 v[46:47], v[60:61], v[68:69]
	;; [unrolled: 1-line block ×4, first 2 shown]
	v_add_f64 v[74:75], v[48:49], -v[52:53]
	v_fma_f64 v[48:49], s[0:1], v[58:59], v[36:37]
	v_fmac_f64_e32 v[36:37], s[14:15], v[58:59]
	v_fma_f64 v[50:51], s[14:15], v[70:71], v[38:39]
	v_fmac_f64_e32 v[38:39], s[0:1], v[70:71]
	ds_write_b128 v158, v[44:47]
	ds_write_b128 v158, v[48:51] offset:176
	ds_write_b128 v158, v[36:39] offset:352
	v_mul_lo_u16_sdwa v36, v114, s16 dst_sel:DWORD dst_unused:UNUSED_PAD src0_sel:BYTE_0 src1_sel:DWORD
	v_lshrrev_b16_e32 v65, 13, v36
	v_mul_lo_u16_e32 v36, 33, v65
	v_add_f64 v[72:73], v[54:55], v[66:67]
	v_sub_u16_e32 v36, v114, v36
	v_add_f64 v[62:63], v[54:55], -v[66:67]
	v_add_f64 v[68:69], v[42:43], v[54:55]
	v_fmac_f64_e32 v[40:41], -0.5, v[60:61]
	v_fmac_f64_e32 v[42:43], -0.5, v[72:73]
	v_and_b32_e32 v102, 0xff, v36
	s_movk_i32 s16, 0x50
	v_mov_b64_e32 v[36:37], s[10:11]
	v_add_f64 v[52:53], v[56:57], v[52:53]
	v_add_f64 v[54:55], v[68:69], v[66:67]
	v_fma_f64 v[44:45], s[0:1], v[62:63], v[40:41]
	v_fmac_f64_e32 v[40:41], s[14:15], v[62:63]
	v_fma_f64 v[46:47], s[14:15], v[74:75], v[42:43]
	v_fmac_f64_e32 v[42:43], s[0:1], v[74:75]
	v_mad_u64_u32 v[56:57], s[16:17], v102, s16, v[36:37]
	ds_write_b128 v159, v[52:55]
	ds_write_b128 v159, v[44:47] offset:176
	ds_write_b128 v159, v[40:43] offset:352
	s_waitcnt lgkmcnt(0)
	s_barrier
	global_load_dwordx4 v[48:51], v[56:57], off offset:352
	global_load_dwordx4 v[44:47], v[56:57], off offset:368
	;; [unrolled: 1-line block ×5, first 2 shown]
	ds_read_b128 v[56:59], v115
	ds_read_b128 v[60:63], v115 offset:1584
	ds_read_b128 v[66:69], v115 offset:3168
	;; [unrolled: 1-line block ×5, first 2 shown]
	v_mul_u32_u24_e32 v65, 0xc6, v65
	v_add_lshl_u32 v160, v65, v102, 4
	s_waitcnt lgkmcnt(0)
	s_barrier
	v_lshlrev_b32_e32 v65, 5, v114
	s_waitcnt vmcnt(4)
	v_mul_f64 v[84:85], v[60:61], v[50:51]
	s_waitcnt vmcnt(3)
	v_mul_f64 v[88:89], v[66:67], v[46:47]
	;; [unrolled: 2-line block ×5, first 2 shown]
	v_mul_f64 v[82:83], v[62:63], v[50:51]
	v_mul_f64 v[86:87], v[68:69], v[46:47]
	;; [unrolled: 1-line block ×5, first 2 shown]
	v_fmac_f64_e32 v[84:85], v[62:63], v[48:49]
	v_fmac_f64_e32 v[88:89], v[68:69], v[44:45]
	v_fmac_f64_e32 v[92:93], v[72:73], v[40:41]
	v_fmac_f64_e32 v[96:97], v[76:77], v[36:37]
	v_fmac_f64_e32 v[100:101], v[80:81], v[52:53]
	v_fma_f64 v[82:83], v[60:61], v[48:49], -v[82:83]
	v_fma_f64 v[60:61], v[66:67], v[44:45], -v[86:87]
	;; [unrolled: 1-line block ×5, first 2 shown]
	v_add_f64 v[74:75], v[88:89], -v[96:97]
	v_add_f64 v[76:77], v[58:59], v[88:89]
	v_add_f64 v[78:79], v[88:89], v[96:97]
	v_add_f64 v[88:89], v[92:93], -v[100:101]
	v_add_f64 v[90:91], v[84:85], v[92:93]
	v_add_f64 v[92:93], v[92:93], v[100:101]
	;; [unrolled: 1-line block ×4, first 2 shown]
	v_add_f64 v[62:63], v[62:63], -v[68:69]
	v_fmac_f64_e32 v[84:85], -0.5, v[92:93]
	v_add_f64 v[70:71], v[56:57], v[60:61]
	v_fmac_f64_e32 v[58:59], -0.5, v[78:79]
	v_add_f64 v[78:79], v[80:81], v[68:69]
	v_fmac_f64_e32 v[82:83], -0.5, v[86:87]
	v_fma_f64 v[68:69], s[14:15], v[62:63], v[84:85]
	v_fmac_f64_e32 v[84:85], s[0:1], v[62:63]
	v_add_f64 v[72:73], v[60:61], v[66:67]
	v_add_f64 v[60:61], v[60:61], -v[66:67]
	v_add_f64 v[94:95], v[70:71], v[66:67]
	v_fma_f64 v[66:67], s[0:1], v[88:89], v[82:83]
	v_fmac_f64_e32 v[82:83], s[14:15], v[88:89]
	v_mul_f64 v[98:99], v[84:85], -0.5
	v_fmac_f64_e32 v[56:57], -0.5, v[72:73]
	v_add_f64 v[76:77], v[76:77], v[96:97]
	v_add_f64 v[80:81], v[90:91], v[100:101]
	v_fma_f64 v[90:91], s[14:15], v[60:61], v[58:59]
	v_fmac_f64_e32 v[58:59], s[0:1], v[60:61]
	v_mul_f64 v[88:89], v[68:69], s[0:1]
	v_mul_f64 v[92:93], v[82:83], -0.5
	v_mul_f64 v[96:97], v[66:67], s[14:15]
	v_fmac_f64_e32 v[98:99], s[14:15], v[82:83]
	v_fma_f64 v[86:87], s[0:1], v[74:75], v[56:57]
	v_fmac_f64_e32 v[56:57], s[14:15], v[74:75]
	v_add_f64 v[60:61], v[94:95], v[78:79]
	v_add_f64 v[62:63], v[76:77], v[80:81]
	v_fmac_f64_e32 v[88:89], 0.5, v[66:67]
	v_fmac_f64_e32 v[92:93], s[0:1], v[84:85]
	v_fmac_f64_e32 v[96:97], 0.5, v[68:69]
	v_add_f64 v[72:73], v[58:59], v[98:99]
	v_add_f64 v[66:67], v[86:87], v[88:89]
	;; [unrolled: 1-line block ×4, first 2 shown]
	v_add_f64 v[74:75], v[94:95], -v[78:79]
	v_add_f64 v[78:79], v[86:87], -v[88:89]
	v_add_f64 v[56:57], v[56:57], -v[92:93]
	v_add_f64 v[76:77], v[76:77], -v[80:81]
	v_add_f64 v[80:81], v[90:91], -v[96:97]
	v_add_f64 v[58:59], v[58:59], -v[98:99]
	ds_write_b128 v160, v[60:63]
	ds_write_b128 v160, v[66:69] offset:528
	ds_write_b128 v160, v[70:73] offset:1056
	;; [unrolled: 1-line block ×5, first 2 shown]
	v_lshlrev_b32_e32 v72, 5, v64
	s_waitcnt lgkmcnt(0)
	s_barrier
	global_load_dwordx4 v[60:63], v65, s[10:11] offset:2992
	global_load_dwordx4 v[56:59], v65, s[10:11] offset:3008
	;; [unrolled: 1-line block ×3, first 2 shown]
	s_nop 0
	global_load_dwordx4 v[64:67], v72, s[10:11] offset:3008
	ds_read_b128 v[80:83], v115 offset:3168
	ds_read_b128 v[84:87], v115 offset:6336
	ds_read_b128 v[72:75], v115
	ds_read_b128 v[76:79], v115 offset:1584
	ds_read_b128 v[88:91], v115 offset:4752
	;; [unrolled: 1-line block ×3, first 2 shown]
	s_waitcnt vmcnt(3) lgkmcnt(5)
	v_mul_f64 v[96:97], v[82:83], v[62:63]
	v_mul_f64 v[98:99], v[80:81], v[62:63]
	s_waitcnt vmcnt(2) lgkmcnt(4)
	v_mul_f64 v[100:101], v[86:87], v[58:59]
	v_mul_f64 v[102:103], v[84:85], v[58:59]
	;; [unrolled: 3-line block ×4, first 2 shown]
	v_fma_f64 v[80:81], v[80:81], v[60:61], -v[96:97]
	v_fmac_f64_e32 v[98:99], v[82:83], v[60:61]
	v_fma_f64 v[82:83], v[84:85], v[56:57], -v[100:101]
	v_fmac_f64_e32 v[102:103], v[86:87], v[56:57]
	v_fma_f64 v[84:85], v[88:89], v[68:69], -v[104:105]
	v_fmac_f64_e32 v[106:107], v[90:91], v[68:69]
	v_fma_f64 v[86:87], v[92:93], v[64:65], -v[108:109]
	v_fmac_f64_e32 v[110:111], v[94:95], v[64:65]
	v_add_f64 v[90:91], v[80:81], v[82:83]
	v_add_f64 v[96:97], v[98:99], v[102:103]
	v_add_f64 v[104:105], v[84:85], v[86:87]
	v_add_f64 v[108:109], v[106:107], -v[110:111]
	v_add_f64 v[118:119], v[78:79], v[106:107]
	v_add_f64 v[106:107], v[106:107], v[110:111]
	;; [unrolled: 1-line block ×3, first 2 shown]
	v_add_f64 v[92:93], v[98:99], -v[102:103]
	v_add_f64 v[94:95], v[74:75], v[98:99]
	v_add_f64 v[98:99], v[80:81], -v[82:83]
	v_add_f64 v[100:101], v[76:77], v[84:85]
	v_add_f64 v[120:121], v[84:85], -v[86:87]
	v_fmac_f64_e32 v[72:73], -0.5, v[90:91]
	v_fmac_f64_e32 v[74:75], -0.5, v[96:97]
	;; [unrolled: 1-line block ×4, first 2 shown]
	v_add_f64 v[80:81], v[88:89], v[82:83]
	v_add_f64 v[82:83], v[94:95], v[102:103]
	;; [unrolled: 1-line block ×4, first 2 shown]
	v_fma_f64 v[84:85], s[0:1], v[92:93], v[72:73]
	v_fmac_f64_e32 v[72:73], s[14:15], v[92:93]
	v_fma_f64 v[86:87], s[14:15], v[98:99], v[74:75]
	v_fmac_f64_e32 v[74:75], s[0:1], v[98:99]
	;; [unrolled: 2-line block ×4, first 2 shown]
	ds_write_b128 v115, v[80:83]
	ds_write_b128 v115, v[88:91] offset:1584
	ds_write_b128 v115, v[84:87] offset:3168
	;; [unrolled: 1-line block ×5, first 2 shown]
	s_waitcnt lgkmcnt(0)
	s_barrier
	s_and_saveexec_b64 s[0:1], s[2:3]
	s_cbranch_execz .LBB0_9
; %bb.8:
	v_mov_b32_e32 v113, 0
	v_lshl_add_u64 v[100:101], s[8:9], 0, v[112:113]
	v_add_co_u32_e32 v96, vcc, 0x2000, v100
	s_movk_i32 s14, 0x3000
	s_nop 0
	v_addc_co_u32_e32 v97, vcc, 0, v101, vcc
	global_load_dwordx4 v[96:99], v[96:97], off offset:1312
	v_add_co_u32_e32 v134, vcc, s14, v100
	s_mov_b64 s[10:11], 0x2520
	s_movk_i32 s15, 0x4000
	v_addc_co_u32_e32 v135, vcc, 0, v101, vcc
	v_lshl_add_u64 v[110:111], v[100:101], 0, s[10:11]
	v_add_co_u32_e32 v100, vcc, s15, v100
	global_load_dwordx4 v[102:105], v[110:111], off offset:864
	global_load_dwordx4 v[106:109], v[110:111], off offset:1728
	;; [unrolled: 1-line block ×3, first 2 shown]
	v_addc_co_u32_e32 v101, vcc, 0, v101, vcc
	global_load_dwordx4 v[122:125], v[110:111], off offset:3456
	global_load_dwordx4 v[126:129], v[134:135], off offset:1536
	;; [unrolled: 1-line block ×3, first 2 shown]
	s_nop 0
	global_load_dwordx4 v[134:137], v[134:135], off offset:3264
	s_nop 0
	global_load_dwordx4 v[138:141], v[100:101], off offset:32
	global_load_dwordx4 v[142:145], v[100:101], off offset:896
	;; [unrolled: 1-line block ×3, first 2 shown]
	ds_read_b128 v[150:153], v115
	s_waitcnt vmcnt(10) lgkmcnt(0)
	v_mul_f64 v[110:111], v[152:153], v[98:99]
	v_mul_f64 v[100:101], v[150:151], v[98:99]
	v_fma_f64 v[98:99], v[150:151], v[96:97], -v[110:111]
	v_fmac_f64_e32 v[100:101], v[152:153], v[96:97]
	ds_write_b128 v115, v[98:101]
	ds_read_b128 v[96:99], v112 offset:864
	ds_read_b128 v[150:153], v112 offset:1728
	;; [unrolled: 1-line block ×10, first 2 shown]
	s_waitcnt vmcnt(9) lgkmcnt(9)
	v_mul_f64 v[190:191], v[98:99], v[104:105]
	v_mul_f64 v[110:111], v[96:97], v[104:105]
	s_waitcnt vmcnt(7) lgkmcnt(7)
	v_mul_f64 v[194:195], v[156:157], v[120:121]
	v_mul_f64 v[104:105], v[154:155], v[120:121]
	;; [unrolled: 3-line block ×9, first 2 shown]
	v_mul_f64 v[192:193], v[152:153], v[108:109]
	v_mul_f64 v[100:101], v[150:151], v[108:109]
	v_fma_f64 v[108:109], v[96:97], v[102:103], -v[190:191]
	v_fmac_f64_e32 v[110:111], v[98:99], v[102:103]
	v_fma_f64 v[102:103], v[154:155], v[118:119], -v[194:195]
	v_fmac_f64_e32 v[104:105], v[156:157], v[118:119]
	;; [unrolled: 2-line block ×10, first 2 shown]
	ds_write_b128 v112, v[108:111] offset:864
	ds_write_b128 v112, v[98:101] offset:1728
	;; [unrolled: 1-line block ×10, first 2 shown]
.LBB0_9:
	s_or_b64 exec, exec, s[0:1]
	s_waitcnt lgkmcnt(0)
	s_barrier
	s_and_saveexec_b64 s[0:1], s[2:3]
	s_cbranch_execz .LBB0_11
; %bb.10:
	ds_read_b128 v[80:83], v115
	ds_read_b128 v[84:87], v115 offset:864
	ds_read_b128 v[72:75], v115 offset:1728
	ds_read_b128 v[88:91], v115 offset:2592
	ds_read_b128 v[92:95], v115 offset:3456
	ds_read_b128 v[76:79], v115 offset:4320
	ds_read_b128 v[16:19], v115 offset:5184
	ds_read_b128 v[12:15], v115 offset:6048
	ds_read_b128 v[8:11], v115 offset:6912
	ds_read_b128 v[4:7], v115 offset:7776
	ds_read_b128 v[0:3], v115 offset:8640
.LBB0_11:
	s_or_b64 exec, exec, s[0:1]
	s_waitcnt lgkmcnt(0)
	s_barrier
	s_and_saveexec_b64 s[0:1], s[2:3]
	s_cbranch_execz .LBB0_13
; %bb.12:
	s_mov_b32 s30, 0xf8bb580b
	v_add_f64 v[146:147], v[84:85], -v[0:1]
	s_mov_b32 s26, 0x9bcd5057
	s_mov_b32 s24, 0xbb3a28a1
	v_add_f64 v[140:141], v[72:73], -v[4:5]
	s_mov_b32 s31, 0x3fe14ced
	s_mov_b32 s22, 0x8764f0ba
	v_mul_f64 v[162:163], v[146:147], s[28:29]
	v_add_f64 v[132:133], v[86:87], v[2:3]
	s_mov_b32 s27, 0xbfeeb42a
	v_add_f64 v[130:131], v[88:89], -v[8:9]
	s_mov_b32 s25, 0xbfe82f19
	s_mov_b32 s18, 0x7f775887
	v_mul_f64 v[108:109], v[140:141], s[30:31]
	v_add_f64 v[126:127], v[74:75], v[6:7]
	s_mov_b32 s23, 0x3feaeb8c
	v_fma_f64 v[134:135], s[26:27], v[132:133], v[162:163]
	v_fma_f64 v[162:163], v[132:133], s[26:27], -v[162:163]
	s_mov_b32 s16, 0x43842ef
	v_add_f64 v[128:129], v[92:93], -v[12:13]
	s_mov_b32 s21, 0x3fed1bb4
	s_mov_b32 s20, 0x8eee2c13
	s_mov_b32 s14, 0xd9c712b6
	v_mul_f64 v[104:105], v[130:131], s[24:25]
	v_add_f64 v[122:123], v[90:91], v[10:11]
	s_mov_b32 s19, 0xbfe4f49e
	v_fma_f64 v[110:111], s[22:23], v[126:127], v[108:109]
	v_fma_f64 v[108:109], v[126:127], s[22:23], -v[108:109]
	v_add_f64 v[162:163], v[82:83], v[162:163]
	v_add_f64 v[124:125], v[76:77], -v[16:17]
	s_mov_b32 s17, 0xbfefac9e
	s_mov_b32 s10, 0x640f44db
	v_mul_f64 v[102:103], v[128:129], s[20:21]
	v_add_f64 v[120:121], v[94:95], v[14:15]
	s_mov_b32 s15, 0x3fda9628
	v_fma_f64 v[106:107], s[18:19], v[122:123], v[104:105]
	v_add_f64 v[156:157], v[86:87], -v[2:3]
	v_fma_f64 v[104:105], v[122:123], s[18:19], -v[104:105]
	v_add_f64 v[108:109], v[108:109], v[162:163]
	v_mul_f64 v[100:101], v[124:125], s[16:17]
	v_add_f64 v[118:119], v[78:79], v[18:19]
	s_mov_b32 s11, 0xbfc2375f
	v_fma_f64 v[98:99], s[14:15], v[120:121], v[102:103]
	v_add_f64 v[154:155], v[74:75], -v[6:7]
	v_add_f64 v[144:145], v[84:85], v[0:1]
	v_mul_f64 v[174:175], v[156:157], s[28:29]
	v_fma_f64 v[102:103], v[120:121], s[14:15], -v[102:103]
	v_add_f64 v[104:105], v[104:105], v[108:109]
	v_fma_f64 v[96:97], s[10:11], v[118:119], v[100:101]
	v_add_f64 v[134:135], v[82:83], v[134:135]
	v_add_f64 v[152:153], v[90:91], -v[10:11]
	v_add_f64 v[142:143], v[72:73], v[4:5]
	v_mul_f64 v[170:171], v[154:155], s[30:31]
	v_fma_f64 v[176:177], v[144:145], s[26:27], -v[174:175]
	v_fma_f64 v[100:101], v[118:119], s[10:11], -v[100:101]
	v_add_f64 v[102:103], v[102:103], v[104:105]
	v_fmac_f64_e32 v[174:175], s[26:27], v[144:145]
	v_add_f64 v[110:111], v[110:111], v[134:135]
	v_add_f64 v[150:151], v[94:95], -v[14:15]
	v_add_f64 v[138:139], v[88:89], v[8:9]
	v_mul_f64 v[166:167], v[152:153], s[24:25]
	v_fma_f64 v[172:173], v[142:143], s[22:23], -v[170:171]
	v_add_f64 v[176:177], v[80:81], v[176:177]
	v_add_f64 v[102:103], v[100:101], v[102:103]
	v_fmac_f64_e32 v[170:171], s[22:23], v[142:143]
	v_add_f64 v[100:101], v[80:81], v[174:175]
	v_add_f64 v[106:107], v[106:107], v[110:111]
	v_add_f64 v[148:149], v[78:79], -v[18:19]
	v_add_f64 v[136:137], v[92:93], v[12:13]
	v_mul_f64 v[110:111], v[150:151], s[20:21]
	v_fma_f64 v[168:169], v[138:139], s[18:19], -v[166:167]
	v_add_f64 v[172:173], v[172:173], v[176:177]
	v_fmac_f64_e32 v[166:167], s[18:19], v[138:139]
	v_add_f64 v[100:101], v[170:171], v[100:101]
	s_mov_b32 s37, 0x3fefac9e
	s_mov_b32 s36, s16
	v_mul_f64 v[170:171], v[146:147], s[24:25]
	v_add_f64 v[98:99], v[98:99], v[106:107]
	v_add_f64 v[134:135], v[76:77], v[16:17]
	v_mul_f64 v[106:107], v[148:149], s[16:17]
	v_fma_f64 v[164:165], v[136:137], s[14:15], -v[110:111]
	v_add_f64 v[168:169], v[168:169], v[172:173]
	v_add_f64 v[100:101], v[166:167], v[100:101]
	s_mov_b32 s35, 0xbfe14ced
	s_mov_b32 s34, s30
	v_mul_f64 v[166:167], v[140:141], s[36:37]
	v_fma_f64 v[172:173], s[18:19], v[132:133], v[170:171]
	v_fma_f64 v[170:171], v[132:133], s[18:19], -v[170:171]
	v_add_f64 v[98:99], v[96:97], v[98:99]
	v_fma_f64 v[96:97], v[134:135], s[10:11], -v[106:107]
	v_add_f64 v[164:165], v[164:165], v[168:169]
	v_fmac_f64_e32 v[110:111], s[14:15], v[136:137]
	v_mul_f64 v[162:163], v[130:131], s[34:35]
	v_fma_f64 v[168:169], s[10:11], v[126:127], v[166:167]
	v_fma_f64 v[166:167], v[126:127], s[10:11], -v[166:167]
	v_add_f64 v[170:171], v[82:83], v[170:171]
	v_add_f64 v[96:97], v[96:97], v[164:165]
	v_fmac_f64_e32 v[106:107], s[10:11], v[134:135]
	v_add_f64 v[100:101], v[110:111], v[100:101]
	v_mul_f64 v[110:111], v[128:129], s[28:29]
	v_fma_f64 v[164:165], s[22:23], v[122:123], v[162:163]
	v_fma_f64 v[162:163], v[122:123], s[22:23], -v[162:163]
	v_add_f64 v[166:167], v[166:167], v[170:171]
	v_add_f64 v[100:101], v[106:107], v[100:101]
	v_mul_f64 v[108:109], v[124:125], s[20:21]
	v_fma_f64 v[106:107], s[26:27], v[120:121], v[110:111]
	v_mul_f64 v[182:183], v[156:157], s[24:25]
	v_fma_f64 v[110:111], v[120:121], s[26:27], -v[110:111]
	v_add_f64 v[162:163], v[162:163], v[166:167]
	v_fma_f64 v[104:105], s[14:15], v[118:119], v[108:109]
	v_add_f64 v[172:173], v[82:83], v[172:173]
	v_mul_f64 v[178:179], v[154:155], s[36:37]
	v_fma_f64 v[184:185], v[144:145], s[18:19], -v[182:183]
	v_fma_f64 v[108:109], v[118:119], s[14:15], -v[108:109]
	v_add_f64 v[110:111], v[110:111], v[162:163]
	v_fmac_f64_e32 v[182:183], s[18:19], v[144:145]
	v_add_f64 v[168:169], v[168:169], v[172:173]
	v_mul_f64 v[174:175], v[152:153], s[34:35]
	v_fma_f64 v[180:181], v[142:143], s[10:11], -v[178:179]
	v_add_f64 v[184:185], v[80:81], v[184:185]
	v_add_f64 v[110:111], v[108:109], v[110:111]
	v_fmac_f64_e32 v[178:179], s[10:11], v[142:143]
	v_add_f64 v[108:109], v[80:81], v[182:183]
	v_add_f64 v[164:165], v[164:165], v[168:169]
	v_mul_f64 v[168:169], v[150:151], s[28:29]
	v_fma_f64 v[176:177], v[138:139], s[22:23], -v[174:175]
	v_add_f64 v[180:181], v[180:181], v[184:185]
	v_fmac_f64_e32 v[174:175], s[22:23], v[138:139]
	v_add_f64 v[108:109], v[178:179], v[108:109]
	s_mov_b32 s39, 0x3fd207e7
	s_mov_b32 s38, s28
	v_mul_f64 v[178:179], v[146:147], s[16:17]
	v_add_f64 v[106:107], v[106:107], v[164:165]
	v_mul_f64 v[164:165], v[148:149], s[20:21]
	v_fma_f64 v[172:173], v[136:137], s[26:27], -v[168:169]
	v_add_f64 v[176:177], v[176:177], v[180:181]
	v_add_f64 v[108:109], v[174:175], v[108:109]
	v_mul_f64 v[174:175], v[140:141], s[38:39]
	v_fma_f64 v[180:181], s[10:11], v[132:133], v[178:179]
	v_fma_f64 v[178:179], v[132:133], s[10:11], -v[178:179]
	v_add_f64 v[106:107], v[104:105], v[106:107]
	v_fma_f64 v[104:105], v[134:135], s[14:15], -v[164:165]
	v_add_f64 v[172:173], v[172:173], v[176:177]
	v_fmac_f64_e32 v[168:169], s[26:27], v[136:137]
	v_mul_f64 v[170:171], v[130:131], s[20:21]
	v_fma_f64 v[176:177], s[26:27], v[126:127], v[174:175]
	v_fma_f64 v[174:175], v[126:127], s[26:27], -v[174:175]
	v_add_f64 v[178:179], v[82:83], v[178:179]
	v_add_f64 v[104:105], v[104:105], v[172:173]
	v_fmac_f64_e32 v[164:165], s[14:15], v[134:135]
	v_add_f64 v[108:109], v[168:169], v[108:109]
	v_mul_f64 v[168:169], v[128:129], s[34:35]
	v_fma_f64 v[172:173], s[14:15], v[122:123], v[170:171]
	v_fma_f64 v[170:171], v[122:123], s[14:15], -v[170:171]
	v_add_f64 v[174:175], v[174:175], v[178:179]
	v_add_f64 v[108:109], v[164:165], v[108:109]
	v_mul_f64 v[166:167], v[124:125], s[24:25]
	v_fma_f64 v[164:165], s[22:23], v[120:121], v[168:169]
	v_mul_f64 v[190:191], v[156:157], s[16:17]
	v_fma_f64 v[168:169], v[120:121], s[22:23], -v[168:169]
	v_add_f64 v[170:171], v[170:171], v[174:175]
	v_fma_f64 v[162:163], s[18:19], v[118:119], v[166:167]
	v_add_f64 v[180:181], v[82:83], v[180:181]
	v_mul_f64 v[186:187], v[154:155], s[38:39]
	v_fma_f64 v[192:193], v[144:145], s[10:11], -v[190:191]
	v_fma_f64 v[166:167], v[118:119], s[18:19], -v[166:167]
	v_add_f64 v[168:169], v[168:169], v[170:171]
	v_fmac_f64_e32 v[190:191], s[10:11], v[144:145]
	v_add_f64 v[176:177], v[176:177], v[180:181]
	v_mul_f64 v[182:183], v[152:153], s[20:21]
	v_fma_f64 v[188:189], v[142:143], s[26:27], -v[186:187]
	v_add_f64 v[192:193], v[80:81], v[192:193]
	v_add_f64 v[168:169], v[166:167], v[168:169]
	v_fmac_f64_e32 v[186:187], s[26:27], v[142:143]
	v_add_f64 v[166:167], v[80:81], v[190:191]
	s_mov_b32 s21, 0xbfed1bb4
	v_add_f64 v[172:173], v[172:173], v[176:177]
	v_mul_f64 v[176:177], v[150:151], s[34:35]
	v_fma_f64 v[184:185], v[138:139], s[14:15], -v[182:183]
	v_add_f64 v[188:189], v[188:189], v[192:193]
	v_fmac_f64_e32 v[182:183], s[14:15], v[138:139]
	v_add_f64 v[166:167], v[186:187], v[166:167]
	v_mul_f64 v[186:187], v[146:147], s[20:21]
	v_add_f64 v[164:165], v[164:165], v[172:173]
	v_mul_f64 v[172:173], v[148:149], s[24:25]
	v_fma_f64 v[180:181], v[136:137], s[22:23], -v[176:177]
	v_add_f64 v[184:185], v[184:185], v[188:189]
	v_add_f64 v[166:167], v[182:183], v[166:167]
	v_mul_f64 v[182:183], v[140:141], s[24:25]
	v_fma_f64 v[188:189], s[14:15], v[132:133], v[186:187]
	v_fma_f64 v[186:187], v[132:133], s[14:15], -v[186:187]
	v_add_f64 v[164:165], v[162:163], v[164:165]
	v_fma_f64 v[162:163], v[134:135], s[18:19], -v[172:173]
	v_add_f64 v[180:181], v[180:181], v[184:185]
	v_fmac_f64_e32 v[176:177], s[22:23], v[136:137]
	v_mul_f64 v[178:179], v[130:131], s[38:39]
	v_fma_f64 v[184:185], s[18:19], v[126:127], v[182:183]
	v_fma_f64 v[182:183], v[126:127], s[18:19], -v[182:183]
	v_add_f64 v[186:187], v[82:83], v[186:187]
	v_add_f64 v[162:163], v[162:163], v[180:181]
	v_fmac_f64_e32 v[172:173], s[18:19], v[134:135]
	v_add_f64 v[166:167], v[176:177], v[166:167]
	v_mul_f64 v[176:177], v[128:129], s[36:37]
	v_fma_f64 v[180:181], s[26:27], v[122:123], v[178:179]
	v_fma_f64 v[178:179], v[122:123], s[26:27], -v[178:179]
	v_add_f64 v[182:183], v[182:183], v[186:187]
	v_add_f64 v[166:167], v[172:173], v[166:167]
	v_mul_f64 v[174:175], v[124:125], s[30:31]
	v_fma_f64 v[172:173], s[10:11], v[120:121], v[176:177]
	v_mul_f64 v[198:199], v[156:157], s[20:21]
	v_fma_f64 v[176:177], v[120:121], s[10:11], -v[176:177]
	v_add_f64 v[178:179], v[178:179], v[182:183]
	v_fma_f64 v[170:171], s[22:23], v[118:119], v[174:175]
	v_add_f64 v[188:189], v[82:83], v[188:189]
	v_mul_f64 v[194:195], v[154:155], s[24:25]
	v_fma_f64 v[200:201], v[144:145], s[14:15], -v[198:199]
	v_fma_f64 v[174:175], v[118:119], s[22:23], -v[174:175]
	v_add_f64 v[176:177], v[176:177], v[178:179]
	v_fmac_f64_e32 v[198:199], s[14:15], v[144:145]
	v_add_f64 v[184:185], v[184:185], v[188:189]
	v_mul_f64 v[190:191], v[152:153], s[38:39]
	v_fma_f64 v[196:197], v[142:143], s[18:19], -v[194:195]
	v_add_f64 v[176:177], v[174:175], v[176:177]
	v_fmac_f64_e32 v[194:195], s[18:19], v[142:143]
	v_add_f64 v[174:175], v[80:81], v[198:199]
	v_add_f64 v[180:181], v[180:181], v[184:185]
	v_mul_f64 v[184:185], v[150:151], s[36:37]
	v_fma_f64 v[192:193], v[138:139], s[26:27], -v[190:191]
	v_fmac_f64_e32 v[190:191], s[26:27], v[138:139]
	v_add_f64 v[174:175], v[194:195], v[174:175]
	v_fma_f64 v[188:189], v[136:137], s[10:11], -v[184:185]
	v_fmac_f64_e32 v[184:185], s[10:11], v[136:137]
	v_add_f64 v[174:175], v[190:191], v[174:175]
	v_mul_f64 v[124:125], v[124:125], s[28:29]
	v_mul_f64 v[140:141], v[140:141], s[20:21]
	;; [unrolled: 1-line block ×3, first 2 shown]
	v_add_f64 v[174:175], v[184:185], v[174:175]
	v_fma_f64 v[178:179], s[26:27], v[118:119], v[124:125]
	v_fma_f64 v[184:185], s[14:15], v[126:127], v[140:141]
	;; [unrolled: 1-line block ×3, first 2 shown]
	v_fma_f64 v[118:119], v[118:119], s[26:27], -v[124:125]
	v_fma_f64 v[124:125], v[126:127], s[14:15], -v[140:141]
	;; [unrolled: 1-line block ×3, first 2 shown]
	v_add_f64 v[186:187], v[82:83], v[186:187]
	v_add_f64 v[126:127], v[82:83], v[126:127]
	;; [unrolled: 1-line block ×14, first 2 shown]
	v_mul_f64 v[180:181], v[148:149], s[30:31]
	v_add_f64 v[200:201], v[80:81], v[200:201]
	v_add_f64 v[6:7], v[6:7], v[72:73]
	;; [unrolled: 1-line block ×3, first 2 shown]
	v_fma_f64 v[170:171], v[134:135], s[22:23], -v[180:181]
	v_add_f64 v[196:197], v[196:197], v[200:201]
	v_fmac_f64_e32 v[180:181], s[22:23], v[134:135]
	v_mul_f64 v[182:183], v[130:131], s[16:17]
	v_add_f64 v[6:7], v[6:7], v[88:89]
	v_add_f64 v[192:193], v[192:193], v[196:197]
	;; [unrolled: 1-line block ×3, first 2 shown]
	v_mul_f64 v[180:181], v[128:129], s[24:25]
	v_fma_f64 v[130:131], s[10:11], v[122:123], v[182:183]
	v_fma_f64 v[122:123], v[122:123], s[10:11], -v[182:183]
	v_add_f64 v[124:125], v[124:125], v[126:127]
	v_add_f64 v[6:7], v[6:7], v[92:93]
	;; [unrolled: 1-line block ×3, first 2 shown]
	v_fma_f64 v[128:129], s[18:19], v[120:121], v[180:181]
	v_mul_f64 v[156:157], v[156:157], s[34:35]
	v_fma_f64 v[120:121], v[120:121], s[18:19], -v[180:181]
	v_add_f64 v[122:123], v[122:123], v[124:125]
	v_add_f64 v[6:7], v[6:7], v[76:77]
	;; [unrolled: 1-line block ×4, first 2 shown]
	v_mul_f64 v[154:155], v[154:155], s[20:21]
	v_fma_f64 v[188:189], v[144:145], s[22:23], -v[156:157]
	v_add_f64 v[120:121], v[120:121], v[122:123]
	v_fmac_f64_e32 v[156:157], s[22:23], v[144:145]
	v_add_f64 v[6:7], v[6:7], v[16:17]
	v_add_f64 v[130:131], v[130:131], v[184:185]
	v_mul_f64 v[152:153], v[152:153], s[16:17]
	v_fma_f64 v[186:187], v[142:143], s[14:15], -v[154:155]
	v_add_f64 v[188:189], v[80:81], v[188:189]
	v_add_f64 v[120:121], v[118:119], v[120:121]
	v_fmac_f64_e32 v[154:155], s[14:15], v[142:143]
	v_add_f64 v[118:119], v[80:81], v[156:157]
	v_add_f64 v[6:7], v[6:7], v[12:13]
	v_add_f64 v[128:129], v[128:129], v[130:131]
	v_mul_f64 v[150:151], v[150:151], s[24:25]
	v_fma_f64 v[184:185], v[138:139], s[10:11], -v[152:153]
	v_add_f64 v[186:187], v[186:187], v[188:189]
	v_fmac_f64_e32 v[152:153], s[10:11], v[138:139]
	v_add_f64 v[118:119], v[154:155], v[118:119]
	v_add_f64 v[6:7], v[6:7], v[8:9]
	;; [unrolled: 1-line block ×3, first 2 shown]
	v_mul_f64 v[148:149], v[148:149], s[28:29]
	v_fma_f64 v[178:179], v[136:137], s[18:19], -v[150:151]
	v_add_f64 v[184:185], v[184:185], v[186:187]
	v_fmac_f64_e32 v[150:151], s[18:19], v[136:137]
	v_add_f64 v[118:119], v[152:153], v[118:119]
	v_add_f64 v[4:5], v[6:7], v[4:5]
	v_fma_f64 v[128:129], v[134:135], s[26:27], -v[148:149]
	v_add_f64 v[178:179], v[178:179], v[184:185]
	v_fmac_f64_e32 v[148:149], s[26:27], v[134:135]
	v_add_f64 v[118:119], v[150:151], v[118:119]
	v_add_f64 v[0:1], v[4:5], v[0:1]
	v_lshlrev_b32_e32 v4, 4, v117
	v_add_f64 v[128:129], v[128:129], v[178:179]
	v_add_f64 v[118:119], v[148:149], v[118:119]
	ds_write_b128 v4, v[0:3]
	ds_write_b128 v4, v[118:121] offset:16
	ds_write_b128 v4, v[174:177] offset:32
	;; [unrolled: 1-line block ×10, first 2 shown]
.LBB0_13:
	s_or_b64 exec, exec, s[0:1]
	s_waitcnt lgkmcnt(0)
	s_barrier
	ds_read_b128 v[0:3], v115 offset:3168
	ds_read_b128 v[4:7], v115
	ds_read_b128 v[8:11], v115 offset:1584
	ds_read_b128 v[12:15], v115 offset:4752
	;; [unrolled: 1-line block ×4, first 2 shown]
	s_waitcnt lgkmcnt(5)
	v_mul_f64 v[76:77], v[26:27], v[2:3]
	v_fmac_f64_e32 v[76:77], v[24:25], v[0:1]
	v_mul_f64 v[0:1], v[26:27], v[0:1]
	v_fma_f64 v[24:25], v[24:25], v[2:3], -v[0:1]
	s_waitcnt lgkmcnt(1)
	v_mul_f64 v[26:27], v[22:23], v[18:19]
	v_mul_f64 v[0:1], v[22:23], v[16:17]
	v_fmac_f64_e32 v[26:27], v[20:21], v[16:17]
	v_fma_f64 v[16:17], v[20:21], v[18:19], -v[0:1]
	v_mul_f64 v[22:23], v[34:35], v[14:15]
	v_mul_f64 v[0:1], v[34:35], v[12:13]
	v_fmac_f64_e32 v[22:23], v[32:33], v[12:13]
	v_fma_f64 v[32:33], v[32:33], v[14:15], -v[0:1]
	s_waitcnt lgkmcnt(0)
	v_mul_f64 v[34:35], v[30:31], v[74:75]
	v_mul_f64 v[0:1], v[30:31], v[72:73]
	v_add_f64 v[2:3], v[76:77], v[26:27]
	s_mov_b32 s0, 0xe8584caa
	v_fmac_f64_e32 v[34:35], v[28:29], v[72:73]
	v_fma_f64 v[28:29], v[28:29], v[74:75], -v[0:1]
	v_add_f64 v[0:1], v[4:5], v[76:77]
	v_fmac_f64_e32 v[4:5], -0.5, v[2:3]
	v_add_f64 v[2:3], v[24:25], -v[16:17]
	s_mov_b32 s1, 0xbfebb67a
	s_mov_b32 s11, 0x3febb67a
	;; [unrolled: 1-line block ×3, first 2 shown]
	v_fma_f64 v[12:13], s[0:1], v[2:3], v[4:5]
	v_fmac_f64_e32 v[4:5], s[10:11], v[2:3]
	v_add_f64 v[2:3], v[6:7], v[24:25]
	v_add_f64 v[14:15], v[24:25], v[16:17]
	;; [unrolled: 1-line block ×3, first 2 shown]
	v_fmac_f64_e32 v[6:7], -0.5, v[14:15]
	v_add_f64 v[16:17], v[76:77], -v[26:27]
	v_add_f64 v[18:19], v[22:23], v[34:35]
	v_fma_f64 v[14:15], s[10:11], v[16:17], v[6:7]
	v_fmac_f64_e32 v[6:7], s[0:1], v[16:17]
	v_add_f64 v[16:17], v[8:9], v[22:23]
	v_fmac_f64_e32 v[8:9], -0.5, v[18:19]
	v_add_f64 v[18:19], v[32:33], -v[28:29]
	v_add_f64 v[24:25], v[32:33], v[28:29]
	v_fma_f64 v[20:21], s[0:1], v[18:19], v[8:9]
	v_fmac_f64_e32 v[8:9], s[10:11], v[18:19]
	v_add_f64 v[18:19], v[10:11], v[32:33]
	v_fmac_f64_e32 v[10:11], -0.5, v[24:25]
	v_add_f64 v[24:25], v[22:23], -v[34:35]
	v_add_f64 v[0:1], v[0:1], v[26:27]
	v_add_f64 v[16:17], v[16:17], v[34:35]
	;; [unrolled: 1-line block ×3, first 2 shown]
	v_fma_f64 v[22:23], s[10:11], v[24:25], v[10:11]
	v_fmac_f64_e32 v[10:11], s[0:1], v[24:25]
	s_barrier
	ds_write_b128 v158, v[0:3]
	ds_write_b128 v158, v[12:15] offset:176
	ds_write_b128 v158, v[4:7] offset:352
	ds_write_b128 v159, v[16:19]
	ds_write_b128 v159, v[20:23] offset:176
	ds_write_b128 v159, v[8:11] offset:352
	s_waitcnt lgkmcnt(0)
	s_barrier
	ds_read_b128 v[0:3], v115
	ds_read_b128 v[4:7], v115 offset:1584
	ds_read_b128 v[8:11], v115 offset:3168
	;; [unrolled: 1-line block ×5, first 2 shown]
	s_waitcnt lgkmcnt(4)
	v_mul_f64 v[24:25], v[50:51], v[6:7]
	v_fmac_f64_e32 v[24:25], v[48:49], v[4:5]
	v_mul_f64 v[4:5], v[50:51], v[4:5]
	v_fma_f64 v[26:27], v[48:49], v[6:7], -v[4:5]
	s_waitcnt lgkmcnt(3)
	v_mul_f64 v[4:5], v[46:47], v[10:11]
	v_mul_f64 v[6:7], v[46:47], v[8:9]
	v_fmac_f64_e32 v[4:5], v[44:45], v[8:9]
	v_fma_f64 v[6:7], v[44:45], v[10:11], -v[6:7]
	s_waitcnt lgkmcnt(2)
	v_mul_f64 v[8:9], v[42:43], v[14:15]
	v_mul_f64 v[10:11], v[42:43], v[12:13]
	v_fmac_f64_e32 v[8:9], v[40:41], v[12:13]
	;; [unrolled: 5-line block ×3, first 2 shown]
	v_fma_f64 v[14:15], v[36:37], v[18:19], -v[14:15]
	s_waitcnt lgkmcnt(0)
	v_mul_f64 v[18:19], v[54:55], v[20:21]
	v_mul_f64 v[16:17], v[54:55], v[22:23]
	v_fma_f64 v[18:19], v[52:53], v[22:23], -v[18:19]
	v_add_f64 v[22:23], v[4:5], v[12:13]
	v_fmac_f64_e32 v[16:17], v[52:53], v[20:21]
	v_add_f64 v[20:21], v[0:1], v[4:5]
	v_fmac_f64_e32 v[0:1], -0.5, v[22:23]
	v_add_f64 v[22:23], v[6:7], -v[14:15]
	v_fma_f64 v[28:29], s[0:1], v[22:23], v[0:1]
	v_fmac_f64_e32 v[0:1], s[10:11], v[22:23]
	v_add_f64 v[22:23], v[2:3], v[6:7]
	v_add_f64 v[6:7], v[6:7], v[14:15]
	v_fmac_f64_e32 v[2:3], -0.5, v[6:7]
	v_add_f64 v[4:5], v[4:5], -v[12:13]
	v_fma_f64 v[30:31], s[10:11], v[4:5], v[2:3]
	v_fmac_f64_e32 v[2:3], s[0:1], v[4:5]
	v_add_f64 v[4:5], v[24:25], v[8:9]
	v_add_f64 v[32:33], v[4:5], v[16:17]
	;; [unrolled: 1-line block ×3, first 2 shown]
	v_fmac_f64_e32 v[24:25], -0.5, v[4:5]
	v_add_f64 v[4:5], v[10:11], -v[18:19]
	v_add_f64 v[22:23], v[22:23], v[14:15]
	v_fma_f64 v[14:15], s[0:1], v[4:5], v[24:25]
	v_fmac_f64_e32 v[24:25], s[10:11], v[4:5]
	v_add_f64 v[4:5], v[26:27], v[10:11]
	v_add_f64 v[34:35], v[4:5], v[18:19]
	;; [unrolled: 1-line block ×3, first 2 shown]
	v_fmac_f64_e32 v[26:27], -0.5, v[4:5]
	v_add_f64 v[4:5], v[8:9], -v[16:17]
	v_fma_f64 v[10:11], s[10:11], v[4:5], v[26:27]
	v_fmac_f64_e32 v[26:27], s[0:1], v[4:5]
	v_mul_f64 v[18:19], v[10:11], s[0:1]
	v_mul_f64 v[36:37], v[26:27], s[0:1]
	v_mul_f64 v[38:39], v[10:11], 0.5
	v_mul_f64 v[26:27], v[26:27], -0.5
	v_add_f64 v[20:21], v[20:21], v[12:13]
	v_fmac_f64_e32 v[18:19], 0.5, v[14:15]
	v_fmac_f64_e32 v[36:37], -0.5, v[24:25]
	v_fmac_f64_e32 v[38:39], s[10:11], v[14:15]
	v_fmac_f64_e32 v[26:27], s[10:11], v[24:25]
	v_add_f64 v[4:5], v[20:21], v[32:33]
	v_add_f64 v[8:9], v[28:29], v[18:19]
	;; [unrolled: 1-line block ×6, first 2 shown]
	v_add_f64 v[16:17], v[20:21], -v[32:33]
	v_add_f64 v[20:21], v[28:29], -v[18:19]
	;; [unrolled: 1-line block ×6, first 2 shown]
	s_barrier
	ds_write_b128 v160, v[4:7]
	ds_write_b128 v160, v[8:11] offset:528
	ds_write_b128 v160, v[12:15] offset:1056
	;; [unrolled: 1-line block ×5, first 2 shown]
	s_waitcnt lgkmcnt(0)
	s_barrier
	ds_read_b128 v[0:3], v115 offset:3168
	ds_read_b128 v[4:7], v115
	ds_read_b128 v[8:11], v115 offset:1584
	ds_read_b128 v[12:15], v115 offset:4752
	;; [unrolled: 1-line block ×4, first 2 shown]
	s_waitcnt lgkmcnt(5)
	v_mul_f64 v[24:25], v[62:63], v[2:3]
	v_fmac_f64_e32 v[24:25], v[60:61], v[0:1]
	v_mul_f64 v[0:1], v[62:63], v[0:1]
	v_fma_f64 v[26:27], v[60:61], v[2:3], -v[0:1]
	s_waitcnt lgkmcnt(1)
	v_mul_f64 v[28:29], v[58:59], v[18:19]
	v_mul_f64 v[0:1], v[58:59], v[16:17]
	v_fmac_f64_e32 v[28:29], v[56:57], v[16:17]
	v_fma_f64 v[16:17], v[56:57], v[18:19], -v[0:1]
	v_mul_f64 v[0:1], v[70:71], v[12:13]
	v_fma_f64 v[32:33], v[68:69], v[14:15], -v[0:1]
	s_waitcnt lgkmcnt(0)
	v_mul_f64 v[0:1], v[66:67], v[20:21]
	v_add_f64 v[2:3], v[24:25], v[28:29]
	v_mul_f64 v[30:31], v[70:71], v[14:15]
	v_mul_f64 v[34:35], v[66:67], v[22:23]
	v_fma_f64 v[22:23], v[64:65], v[22:23], -v[0:1]
	v_add_f64 v[0:1], v[4:5], v[24:25]
	v_fmac_f64_e32 v[4:5], -0.5, v[2:3]
	v_add_f64 v[2:3], v[26:27], -v[16:17]
	v_fmac_f64_e32 v[30:31], v[68:69], v[12:13]
	v_fmac_f64_e32 v[34:35], v[64:65], v[20:21]
	v_fma_f64 v[12:13], s[0:1], v[2:3], v[4:5]
	v_fmac_f64_e32 v[4:5], s[10:11], v[2:3]
	v_add_f64 v[2:3], v[6:7], v[26:27]
	v_add_f64 v[14:15], v[26:27], v[16:17]
	v_add_f64 v[2:3], v[2:3], v[16:17]
	v_fmac_f64_e32 v[6:7], -0.5, v[14:15]
	v_add_f64 v[16:17], v[24:25], -v[28:29]
	v_add_f64 v[18:19], v[30:31], v[34:35]
	v_fma_f64 v[14:15], s[10:11], v[16:17], v[6:7]
	v_fmac_f64_e32 v[6:7], s[0:1], v[16:17]
	v_add_f64 v[16:17], v[8:9], v[30:31]
	v_fmac_f64_e32 v[8:9], -0.5, v[18:19]
	v_add_f64 v[18:19], v[32:33], -v[22:23]
	v_fma_f64 v[20:21], s[0:1], v[18:19], v[8:9]
	v_fmac_f64_e32 v[8:9], s[10:11], v[18:19]
	v_add_f64 v[18:19], v[10:11], v[32:33]
	v_add_f64 v[18:19], v[18:19], v[22:23]
	;; [unrolled: 1-line block ×4, first 2 shown]
	v_fmac_f64_e32 v[10:11], -0.5, v[22:23]
	v_add_f64 v[24:25], v[30:31], -v[34:35]
	v_add_f64 v[16:17], v[16:17], v[34:35]
	v_fma_f64 v[22:23], s[10:11], v[24:25], v[10:11]
	v_fmac_f64_e32 v[10:11], s[0:1], v[24:25]
	ds_write_b128 v115, v[0:3]
	ds_write_b128 v115, v[12:15] offset:3168
	ds_write_b128 v115, v[4:7] offset:6336
	;; [unrolled: 1-line block ×5, first 2 shown]
	s_waitcnt lgkmcnt(0)
	s_barrier
	s_and_b64 exec, exec, s[2:3]
	s_cbranch_execz .LBB0_15
; %bb.14:
	global_load_dwordx4 v[0:3], v112, s[8:9]
	global_load_dwordx4 v[4:7], v112, s[8:9] offset:864
	global_load_dwordx4 v[8:11], v112, s[8:9] offset:1728
	;; [unrolled: 1-line block ×4, first 2 shown]
	v_mad_u64_u32 v[66:67], s[0:1], s6, v116, 0
	v_mov_b32_e32 v113, 0
	s_movk_i32 s0, 0x1000
	v_lshl_add_u64 v[54:55], s[8:9], 0, v[112:113]
	v_add_co_u32_e32 v68, vcc, s0, v54
	ds_read_b128 v[22:25], v115
	s_nop 0
	v_addc_co_u32_e32 v69, vcc, 0, v55, vcc
	global_load_dwordx4 v[26:29], v[68:69], off offset:224
	ds_read_b128 v[30:33], v112 offset:864
	ds_read_b128 v[34:37], v112 offset:1728
	global_load_dwordx4 v[38:41], v[68:69], off offset:1088
	v_mad_u64_u32 v[70:71], s[2:3], s4, v114, 0
	v_mov_b32_e32 v50, v67
	v_mov_b32_e32 v52, v71
	ds_read_b128 v[42:45], v112 offset:2592
	ds_read_b128 v[46:49], v112 offset:3456
	v_mad_u64_u32 v[56:57], s[6:7], s7, v116, v[50:51]
	v_mad_u64_u32 v[58:59], s[6:7], s5, v114, v[52:53]
	global_load_dwordx4 v[50:53], v[68:69], off offset:1952
	s_movk_i32 s3, 0x2000
	v_add_co_u32_e32 v72, vcc, s3, v54
	v_mov_b32_e32 v67, v56
	s_nop 0
	v_addc_co_u32_e32 v73, vcc, 0, v55, vcc
	v_mov_b32_e32 v71, v58
	global_load_dwordx4 v[54:57], v[68:69], off offset:2816
	global_load_dwordx4 v[58:61], v[68:69], off offset:3680
	;; [unrolled: 1-line block ×3, first 2 shown]
	v_mov_b32_e32 v20, s12
	v_mov_b32_e32 v21, s13
	v_lshl_add_u64 v[20:21], v[66:67], 4, v[20:21]
	v_mov_b32_e32 v80, 0x360
	v_lshl_add_u64 v[20:21], v[70:71], 4, v[20:21]
	s_mul_i32 s2, s5, 0x360
	v_mad_u64_u32 v[66:67], s[6:7], s4, v80, v[20:21]
	v_add_u32_e32 v67, s2, v67
	s_mov_b32 s0, 0x2b18ff23
	v_mad_u64_u32 v[68:69], s[6:7], s4, v80, v[66:67]
	s_mov_b32 s1, 0x3f5b951e
	v_add_u32_e32 v69, s2, v69
	v_mad_u64_u32 v[70:71], s[6:7], s4, v80, v[68:69]
	v_add_u32_e32 v71, s2, v71
	s_waitcnt vmcnt(10) lgkmcnt(4)
	v_mul_f64 v[72:73], v[24:25], v[2:3]
	v_mul_f64 v[2:3], v[22:23], v[2:3]
	s_waitcnt vmcnt(9) lgkmcnt(3)
	v_mul_f64 v[74:75], v[32:33], v[6:7]
	v_mul_f64 v[6:7], v[30:31], v[6:7]
	;; [unrolled: 3-line block ×4, first 2 shown]
	v_fmac_f64_e32 v[72:73], v[22:23], v[0:1]
	v_fma_f64 v[2:3], v[0:1], v[24:25], -v[2:3]
	v_fmac_f64_e32 v[74:75], v[30:31], v[4:5]
	v_fma_f64 v[6:7], v[4:5], v[32:33], -v[6:7]
	;; [unrolled: 2-line block ×4, first 2 shown]
	v_mul_f64 v[0:1], v[72:73], s[0:1]
	v_mul_f64 v[2:3], v[2:3], s[0:1]
	;; [unrolled: 1-line block ×8, first 2 shown]
	global_store_dwordx4 v[20:21], v[0:3], off
	global_store_dwordx4 v[66:67], v[4:7], off
	;; [unrolled: 1-line block ×4, first 2 shown]
	s_waitcnt vmcnt(10) lgkmcnt(0)
	v_mul_f64 v[0:1], v[48:49], v[18:19]
	v_mul_f64 v[2:3], v[46:47], v[18:19]
	ds_read_b128 v[4:7], v112 offset:4320
	v_fmac_f64_e32 v[0:1], v[46:47], v[16:17]
	v_fma_f64 v[2:3], v[16:17], v[48:49], -v[2:3]
	v_mad_u64_u32 v[12:13], s[6:7], s4, v80, v[70:71]
	v_mul_f64 v[0:1], v[0:1], s[0:1]
	v_mul_f64 v[2:3], v[2:3], s[0:1]
	v_add_u32_e32 v13, s2, v13
	global_store_dwordx4 v[12:13], v[0:3], off
	ds_read_b128 v[0:3], v112 offset:5184
	s_waitcnt vmcnt(10) lgkmcnt(1)
	v_mul_f64 v[8:9], v[6:7], v[28:29]
	v_fmac_f64_e32 v[8:9], v[4:5], v[26:27]
	v_mul_f64 v[4:5], v[4:5], v[28:29]
	v_fma_f64 v[4:5], v[26:27], v[6:7], -v[4:5]
	v_mul_f64 v[10:11], v[4:5], s[0:1]
	s_waitcnt vmcnt(9) lgkmcnt(0)
	v_mul_f64 v[4:5], v[2:3], v[40:41]
	v_fmac_f64_e32 v[4:5], v[0:1], v[38:39]
	v_mul_f64 v[0:1], v[0:1], v[40:41]
	v_mad_u64_u32 v[12:13], s[6:7], s4, v80, v[12:13]
	v_fma_f64 v[0:1], v[38:39], v[2:3], -v[0:1]
	v_mul_f64 v[8:9], v[8:9], s[0:1]
	v_add_u32_e32 v13, s2, v13
	v_mul_f64 v[6:7], v[0:1], s[0:1]
	ds_read_b128 v[0:3], v112 offset:6048
	global_store_dwordx4 v[12:13], v[8:11], off
	v_mad_u64_u32 v[12:13], s[6:7], s4, v80, v[12:13]
	v_mul_f64 v[4:5], v[4:5], s[0:1]
	v_add_u32_e32 v13, s2, v13
	global_store_dwordx4 v[12:13], v[4:7], off
	ds_read_b128 v[4:7], v112 offset:6912
	s_waitcnt vmcnt(10) lgkmcnt(1)
	v_mul_f64 v[8:9], v[2:3], v[52:53]
	v_fmac_f64_e32 v[8:9], v[0:1], v[50:51]
	v_mul_f64 v[0:1], v[0:1], v[52:53]
	v_fma_f64 v[0:1], v[50:51], v[2:3], -v[0:1]
	v_mul_f64 v[10:11], v[0:1], s[0:1]
	v_mad_u64_u32 v[12:13], s[6:7], s4, v80, v[12:13]
	s_waitcnt vmcnt(9) lgkmcnt(0)
	v_mul_f64 v[0:1], v[6:7], v[56:57]
	v_mul_f64 v[2:3], v[4:5], v[56:57]
	;; [unrolled: 1-line block ×3, first 2 shown]
	v_add_u32_e32 v13, s2, v13
	v_fmac_f64_e32 v[0:1], v[4:5], v[54:55]
	v_fma_f64 v[2:3], v[54:55], v[6:7], -v[2:3]
	ds_read_b128 v[4:7], v112 offset:7776
	global_store_dwordx4 v[12:13], v[8:11], off
	v_mad_u64_u32 v[12:13], s[6:7], s4, v80, v[12:13]
	v_mul_f64 v[0:1], v[0:1], s[0:1]
	v_mul_f64 v[2:3], v[2:3], s[0:1]
	v_add_u32_e32 v13, s2, v13
	global_store_dwordx4 v[12:13], v[0:3], off
	ds_read_b128 v[0:3], v112 offset:8640
	s_waitcnt vmcnt(10) lgkmcnt(1)
	v_mul_f64 v[8:9], v[6:7], v[60:61]
	v_fmac_f64_e32 v[8:9], v[4:5], v[58:59]
	v_mul_f64 v[4:5], v[4:5], v[60:61]
	v_fma_f64 v[4:5], v[58:59], v[6:7], -v[4:5]
	v_mul_f64 v[10:11], v[4:5], s[0:1]
	s_waitcnt vmcnt(9) lgkmcnt(0)
	v_mul_f64 v[4:5], v[2:3], v[64:65]
	v_mad_u64_u32 v[12:13], s[6:7], s4, v80, v[12:13]
	v_fmac_f64_e32 v[4:5], v[0:1], v[62:63]
	v_mul_f64 v[0:1], v[0:1], v[64:65]
	v_add_u32_e32 v13, s2, v13
	v_fma_f64 v[0:1], v[62:63], v[2:3], -v[0:1]
	v_mul_f64 v[8:9], v[8:9], s[0:1]
	v_mul_f64 v[4:5], v[4:5], s[0:1]
	;; [unrolled: 1-line block ×3, first 2 shown]
	v_mad_u64_u32 v[0:1], s[0:1], s4, v80, v[12:13]
	v_add_u32_e32 v1, s2, v1
	global_store_dwordx4 v[12:13], v[8:11], off
	global_store_dwordx4 v[0:1], v[4:7], off
.LBB0_15:
	s_endpgm
	.section	.rodata,"a",@progbits
	.p2align	6, 0x0
	.amdhsa_kernel bluestein_single_fwd_len594_dim1_dp_op_CI_CI
		.amdhsa_group_segment_fixed_size 9504
		.amdhsa_private_segment_fixed_size 0
		.amdhsa_kernarg_size 104
		.amdhsa_user_sgpr_count 2
		.amdhsa_user_sgpr_dispatch_ptr 0
		.amdhsa_user_sgpr_queue_ptr 0
		.amdhsa_user_sgpr_kernarg_segment_ptr 1
		.amdhsa_user_sgpr_dispatch_id 0
		.amdhsa_user_sgpr_kernarg_preload_length 0
		.amdhsa_user_sgpr_kernarg_preload_offset 0
		.amdhsa_user_sgpr_private_segment_size 0
		.amdhsa_uses_dynamic_stack 0
		.amdhsa_enable_private_segment 0
		.amdhsa_system_sgpr_workgroup_id_x 1
		.amdhsa_system_sgpr_workgroup_id_y 0
		.amdhsa_system_sgpr_workgroup_id_z 0
		.amdhsa_system_sgpr_workgroup_info 0
		.amdhsa_system_vgpr_workitem_id 0
		.amdhsa_next_free_vgpr 252
		.amdhsa_next_free_sgpr 40
		.amdhsa_accum_offset 252
		.amdhsa_reserve_vcc 1
		.amdhsa_float_round_mode_32 0
		.amdhsa_float_round_mode_16_64 0
		.amdhsa_float_denorm_mode_32 3
		.amdhsa_float_denorm_mode_16_64 3
		.amdhsa_dx10_clamp 1
		.amdhsa_ieee_mode 1
		.amdhsa_fp16_overflow 0
		.amdhsa_tg_split 0
		.amdhsa_exception_fp_ieee_invalid_op 0
		.amdhsa_exception_fp_denorm_src 0
		.amdhsa_exception_fp_ieee_div_zero 0
		.amdhsa_exception_fp_ieee_overflow 0
		.amdhsa_exception_fp_ieee_underflow 0
		.amdhsa_exception_fp_ieee_inexact 0
		.amdhsa_exception_int_div_zero 0
	.end_amdhsa_kernel
	.text
.Lfunc_end0:
	.size	bluestein_single_fwd_len594_dim1_dp_op_CI_CI, .Lfunc_end0-bluestein_single_fwd_len594_dim1_dp_op_CI_CI
                                        ; -- End function
	.section	.AMDGPU.csdata,"",@progbits
; Kernel info:
; codeLenInByte = 11904
; NumSgprs: 46
; NumVgprs: 252
; NumAgprs: 0
; TotalNumVgprs: 252
; ScratchSize: 0
; MemoryBound: 0
; FloatMode: 240
; IeeeMode: 1
; LDSByteSize: 9504 bytes/workgroup (compile time only)
; SGPRBlocks: 5
; VGPRBlocks: 31
; NumSGPRsForWavesPerEU: 46
; NumVGPRsForWavesPerEU: 252
; AccumOffset: 252
; Occupancy: 2
; WaveLimiterHint : 1
; COMPUTE_PGM_RSRC2:SCRATCH_EN: 0
; COMPUTE_PGM_RSRC2:USER_SGPR: 2
; COMPUTE_PGM_RSRC2:TRAP_HANDLER: 0
; COMPUTE_PGM_RSRC2:TGID_X_EN: 1
; COMPUTE_PGM_RSRC2:TGID_Y_EN: 0
; COMPUTE_PGM_RSRC2:TGID_Z_EN: 0
; COMPUTE_PGM_RSRC2:TIDIG_COMP_CNT: 0
; COMPUTE_PGM_RSRC3_GFX90A:ACCUM_OFFSET: 62
; COMPUTE_PGM_RSRC3_GFX90A:TG_SPLIT: 0
	.text
	.p2alignl 6, 3212836864
	.fill 256, 4, 3212836864
	.type	__hip_cuid_8faee1f49716cf56,@object ; @__hip_cuid_8faee1f49716cf56
	.section	.bss,"aw",@nobits
	.globl	__hip_cuid_8faee1f49716cf56
__hip_cuid_8faee1f49716cf56:
	.byte	0                               ; 0x0
	.size	__hip_cuid_8faee1f49716cf56, 1

	.ident	"AMD clang version 19.0.0git (https://github.com/RadeonOpenCompute/llvm-project roc-6.4.0 25133 c7fe45cf4b819c5991fe208aaa96edf142730f1d)"
	.section	".note.GNU-stack","",@progbits
	.addrsig
	.addrsig_sym __hip_cuid_8faee1f49716cf56
	.amdgpu_metadata
---
amdhsa.kernels:
  - .agpr_count:     0
    .args:
      - .actual_access:  read_only
        .address_space:  global
        .offset:         0
        .size:           8
        .value_kind:     global_buffer
      - .actual_access:  read_only
        .address_space:  global
        .offset:         8
        .size:           8
        .value_kind:     global_buffer
      - .actual_access:  read_only
        .address_space:  global
        .offset:         16
        .size:           8
        .value_kind:     global_buffer
      - .actual_access:  read_only
        .address_space:  global
        .offset:         24
        .size:           8
        .value_kind:     global_buffer
      - .actual_access:  read_only
        .address_space:  global
        .offset:         32
        .size:           8
        .value_kind:     global_buffer
      - .offset:         40
        .size:           8
        .value_kind:     by_value
      - .address_space:  global
        .offset:         48
        .size:           8
        .value_kind:     global_buffer
      - .address_space:  global
        .offset:         56
        .size:           8
        .value_kind:     global_buffer
      - .address_space:  global
        .offset:         64
        .size:           8
        .value_kind:     global_buffer
      - .address_space:  global
        .offset:         72
        .size:           8
        .value_kind:     global_buffer
      - .offset:         80
        .size:           4
        .value_kind:     by_value
      - .address_space:  global
        .offset:         88
        .size:           8
        .value_kind:     global_buffer
      - .address_space:  global
        .offset:         96
        .size:           8
        .value_kind:     global_buffer
    .group_segment_fixed_size: 9504
    .kernarg_segment_align: 8
    .kernarg_segment_size: 104
    .language:       OpenCL C
    .language_version:
      - 2
      - 0
    .max_flat_workgroup_size: 99
    .name:           bluestein_single_fwd_len594_dim1_dp_op_CI_CI
    .private_segment_fixed_size: 0
    .sgpr_count:     46
    .sgpr_spill_count: 0
    .symbol:         bluestein_single_fwd_len594_dim1_dp_op_CI_CI.kd
    .uniform_work_group_size: 1
    .uses_dynamic_stack: false
    .vgpr_count:     252
    .vgpr_spill_count: 0
    .wavefront_size: 64
amdhsa.target:   amdgcn-amd-amdhsa--gfx950
amdhsa.version:
  - 1
  - 2
...

	.end_amdgpu_metadata
